;; amdgpu-corpus repo=ROCm/rocFFT kind=compiled arch=gfx950 opt=O3
	.text
	.amdgcn_target "amdgcn-amd-amdhsa--gfx950"
	.amdhsa_code_object_version 6
	.protected	fft_rtc_fwd_len2160_factors_10_6_6_6_wgs_60_tpt_60_halfLds_sp_ip_CI_sbrr_dirReg ; -- Begin function fft_rtc_fwd_len2160_factors_10_6_6_6_wgs_60_tpt_60_halfLds_sp_ip_CI_sbrr_dirReg
	.globl	fft_rtc_fwd_len2160_factors_10_6_6_6_wgs_60_tpt_60_halfLds_sp_ip_CI_sbrr_dirReg
	.p2align	8
	.type	fft_rtc_fwd_len2160_factors_10_6_6_6_wgs_60_tpt_60_halfLds_sp_ip_CI_sbrr_dirReg,@function
fft_rtc_fwd_len2160_factors_10_6_6_6_wgs_60_tpt_60_halfLds_sp_ip_CI_sbrr_dirReg: ; @fft_rtc_fwd_len2160_factors_10_6_6_6_wgs_60_tpt_60_halfLds_sp_ip_CI_sbrr_dirReg
; %bb.0:
	s_load_dwordx2 s[12:13], s[0:1], 0x18
	s_load_dwordx4 s[4:7], s[0:1], 0x0
	s_load_dwordx2 s[10:11], s[0:1], 0x50
	v_mul_u32_u24_e32 v1, 0x445, v0
	v_add_u32_sdwa v6, s2, v1 dst_sel:DWORD dst_unused:UNUSED_PAD src0_sel:DWORD src1_sel:WORD_1
	s_waitcnt lgkmcnt(0)
	s_load_dwordx2 s[8:9], s[12:13], 0x0
	v_mov_b32_e32 v4, 0
	v_cmp_lt_u64_e64 s[2:3], s[6:7], 2
	v_mov_b32_e32 v7, v4
	s_and_b64 vcc, exec, s[2:3]
	v_mov_b64_e32 v[2:3], 0
	s_cbranch_vccnz .LBB0_8
; %bb.1:
	s_load_dwordx2 s[2:3], s[0:1], 0x10
	s_add_u32 s14, s12, 8
	s_addc_u32 s15, s13, 0
	s_mov_b64 s[16:17], 1
	v_mov_b64_e32 v[2:3], 0
	s_waitcnt lgkmcnt(0)
	s_add_u32 s18, s2, 8
	s_addc_u32 s19, s3, 0
.LBB0_2:                                ; =>This Inner Loop Header: Depth=1
	s_load_dwordx2 s[20:21], s[18:19], 0x0
                                        ; implicit-def: $vgpr8_vgpr9
	s_waitcnt lgkmcnt(0)
	v_or_b32_e32 v5, s21, v7
	v_cmp_ne_u64_e32 vcc, 0, v[4:5]
	s_and_saveexec_b64 s[2:3], vcc
	s_xor_b64 s[22:23], exec, s[2:3]
	s_cbranch_execz .LBB0_4
; %bb.3:                                ;   in Loop: Header=BB0_2 Depth=1
	v_cvt_f32_u32_e32 v1, s20
	v_cvt_f32_u32_e32 v5, s21
	s_sub_u32 s2, 0, s20
	s_subb_u32 s3, 0, s21
	v_fmac_f32_e32 v1, 0x4f800000, v5
	v_rcp_f32_e32 v1, v1
	s_nop 0
	v_mul_f32_e32 v1, 0x5f7ffffc, v1
	v_mul_f32_e32 v5, 0x2f800000, v1
	v_trunc_f32_e32 v5, v5
	v_fmac_f32_e32 v1, 0xcf800000, v5
	v_cvt_u32_f32_e32 v5, v5
	v_cvt_u32_f32_e32 v1, v1
	v_mul_lo_u32 v8, s2, v5
	v_mul_hi_u32 v10, s2, v1
	v_mul_lo_u32 v9, s3, v1
	v_add_u32_e32 v10, v10, v8
	v_mul_lo_u32 v12, s2, v1
	v_add_u32_e32 v13, v10, v9
	v_mul_hi_u32 v8, v1, v12
	v_mul_hi_u32 v11, v1, v13
	v_mul_lo_u32 v10, v1, v13
	v_mov_b32_e32 v9, v4
	v_lshl_add_u64 v[8:9], v[8:9], 0, v[10:11]
	v_mul_hi_u32 v11, v5, v12
	v_mul_lo_u32 v12, v5, v12
	v_add_co_u32_e32 v8, vcc, v8, v12
	v_mul_hi_u32 v10, v5, v13
	s_nop 0
	v_addc_co_u32_e32 v8, vcc, v9, v11, vcc
	v_mov_b32_e32 v9, v4
	s_nop 0
	v_addc_co_u32_e32 v11, vcc, 0, v10, vcc
	v_mul_lo_u32 v10, v5, v13
	v_lshl_add_u64 v[8:9], v[8:9], 0, v[10:11]
	v_add_co_u32_e32 v1, vcc, v1, v8
	v_mul_lo_u32 v10, s2, v1
	s_nop 0
	v_addc_co_u32_e32 v5, vcc, v5, v9, vcc
	v_mul_lo_u32 v8, s2, v5
	v_mul_hi_u32 v9, s2, v1
	v_add_u32_e32 v8, v9, v8
	v_mul_lo_u32 v9, s3, v1
	v_add_u32_e32 v12, v8, v9
	v_mul_hi_u32 v14, v5, v10
	v_mul_lo_u32 v15, v5, v10
	v_mul_hi_u32 v9, v1, v12
	v_mul_lo_u32 v8, v1, v12
	v_mul_hi_u32 v10, v1, v10
	v_mov_b32_e32 v11, v4
	v_lshl_add_u64 v[8:9], v[10:11], 0, v[8:9]
	v_add_co_u32_e32 v8, vcc, v8, v15
	v_mul_hi_u32 v13, v5, v12
	s_nop 0
	v_addc_co_u32_e32 v8, vcc, v9, v14, vcc
	v_mul_lo_u32 v10, v5, v12
	s_nop 0
	v_addc_co_u32_e32 v11, vcc, 0, v13, vcc
	v_mov_b32_e32 v9, v4
	v_lshl_add_u64 v[8:9], v[8:9], 0, v[10:11]
	v_add_co_u32_e32 v1, vcc, v1, v8
	v_mul_hi_u32 v10, v6, v1
	s_nop 0
	v_addc_co_u32_e32 v5, vcc, v5, v9, vcc
	v_mad_u64_u32 v[8:9], s[2:3], v6, v5, 0
	v_mov_b32_e32 v11, v4
	v_lshl_add_u64 v[8:9], v[10:11], 0, v[8:9]
	v_mad_u64_u32 v[12:13], s[2:3], v7, v1, 0
	v_add_co_u32_e32 v1, vcc, v8, v12
	v_mad_u64_u32 v[10:11], s[2:3], v7, v5, 0
	s_nop 0
	v_addc_co_u32_e32 v8, vcc, v9, v13, vcc
	v_mov_b32_e32 v9, v4
	s_nop 0
	v_addc_co_u32_e32 v11, vcc, 0, v11, vcc
	v_lshl_add_u64 v[8:9], v[8:9], 0, v[10:11]
	v_mul_lo_u32 v1, s21, v8
	v_mul_lo_u32 v5, s20, v9
	v_mad_u64_u32 v[10:11], s[2:3], s20, v8, 0
	v_add3_u32 v1, v11, v5, v1
	v_sub_u32_e32 v5, v7, v1
	v_mov_b32_e32 v11, s21
	v_sub_co_u32_e32 v14, vcc, v6, v10
	v_lshl_add_u64 v[12:13], v[8:9], 0, 1
	s_nop 0
	v_subb_co_u32_e64 v5, s[2:3], v5, v11, vcc
	v_subrev_co_u32_e64 v10, s[2:3], s20, v14
	v_subb_co_u32_e32 v1, vcc, v7, v1, vcc
	s_nop 0
	v_subbrev_co_u32_e64 v5, s[2:3], 0, v5, s[2:3]
	v_cmp_le_u32_e64 s[2:3], s21, v5
	v_cmp_le_u32_e32 vcc, s21, v1
	s_nop 0
	v_cndmask_b32_e64 v11, 0, -1, s[2:3]
	v_cmp_le_u32_e64 s[2:3], s20, v10
	s_nop 1
	v_cndmask_b32_e64 v10, 0, -1, s[2:3]
	v_cmp_eq_u32_e64 s[2:3], s21, v5
	s_nop 1
	v_cndmask_b32_e64 v5, v11, v10, s[2:3]
	v_lshl_add_u64 v[10:11], v[8:9], 0, 2
	v_cmp_ne_u32_e64 s[2:3], 0, v5
	s_nop 1
	v_cndmask_b32_e64 v5, v13, v11, s[2:3]
	v_cndmask_b32_e64 v11, 0, -1, vcc
	v_cmp_le_u32_e32 vcc, s20, v14
	s_nop 1
	v_cndmask_b32_e64 v13, 0, -1, vcc
	v_cmp_eq_u32_e32 vcc, s21, v1
	s_nop 1
	v_cndmask_b32_e32 v1, v11, v13, vcc
	v_cmp_ne_u32_e32 vcc, 0, v1
	v_cndmask_b32_e64 v1, v12, v10, s[2:3]
	s_nop 0
	v_cndmask_b32_e32 v9, v9, v5, vcc
	v_cndmask_b32_e32 v8, v8, v1, vcc
.LBB0_4:                                ;   in Loop: Header=BB0_2 Depth=1
	s_andn2_saveexec_b64 s[2:3], s[22:23]
	s_cbranch_execz .LBB0_6
; %bb.5:                                ;   in Loop: Header=BB0_2 Depth=1
	v_cvt_f32_u32_e32 v1, s20
	s_sub_i32 s22, 0, s20
	v_rcp_iflag_f32_e32 v1, v1
	s_nop 0
	v_mul_f32_e32 v1, 0x4f7ffffe, v1
	v_cvt_u32_f32_e32 v1, v1
	v_mul_lo_u32 v5, s22, v1
	v_mul_hi_u32 v5, v1, v5
	v_add_u32_e32 v1, v1, v5
	v_mul_hi_u32 v1, v6, v1
	v_mul_lo_u32 v5, v1, s20
	v_sub_u32_e32 v5, v6, v5
	v_add_u32_e32 v8, 1, v1
	v_subrev_u32_e32 v9, s20, v5
	v_cmp_le_u32_e32 vcc, s20, v5
	s_nop 1
	v_cndmask_b32_e32 v5, v5, v9, vcc
	v_cndmask_b32_e32 v1, v1, v8, vcc
	v_add_u32_e32 v8, 1, v1
	v_cmp_le_u32_e32 vcc, s20, v5
	v_mov_b32_e32 v9, v4
	s_nop 0
	v_cndmask_b32_e32 v8, v1, v8, vcc
.LBB0_6:                                ;   in Loop: Header=BB0_2 Depth=1
	s_or_b64 exec, exec, s[2:3]
	v_mad_u64_u32 v[10:11], s[2:3], v8, s20, 0
	s_load_dwordx2 s[2:3], s[14:15], 0x0
	v_mul_lo_u32 v1, v9, s20
	v_mul_lo_u32 v5, v8, s21
	v_add3_u32 v1, v11, v5, v1
	v_sub_co_u32_e32 v5, vcc, v6, v10
	s_add_u32 s16, s16, 1
	s_nop 0
	v_subb_co_u32_e32 v1, vcc, v7, v1, vcc
	s_addc_u32 s17, s17, 0
	s_waitcnt lgkmcnt(0)
	v_mul_lo_u32 v1, s2, v1
	v_mul_lo_u32 v6, s3, v5
	v_mad_u64_u32 v[2:3], s[2:3], s2, v5, v[2:3]
	s_add_u32 s14, s14, 8
	v_add3_u32 v3, v6, v3, v1
	s_addc_u32 s15, s15, 0
	v_mov_b64_e32 v[6:7], s[6:7]
	s_add_u32 s18, s18, 8
	v_cmp_ge_u64_e32 vcc, s[16:17], v[6:7]
	s_addc_u32 s19, s19, 0
	s_cbranch_vccnz .LBB0_9
; %bb.7:                                ;   in Loop: Header=BB0_2 Depth=1
	v_mov_b64_e32 v[6:7], v[8:9]
	s_branch .LBB0_2
.LBB0_8:
	v_mov_b64_e32 v[8:9], v[6:7]
.LBB0_9:
	s_lshl_b64 s[2:3], s[6:7], 3
	s_add_u32 s2, s12, s2
	s_addc_u32 s3, s13, s3
	s_load_dwordx2 s[6:7], s[2:3], 0x0
	s_load_dwordx2 s[12:13], s[0:1], 0x20
	s_mov_b32 s2, 0x4444445
                                        ; implicit-def: $vgpr125
                                        ; implicit-def: $vgpr124
	s_waitcnt lgkmcnt(0)
	v_mul_lo_u32 v1, s6, v9
	v_mul_lo_u32 v4, s7, v8
	v_mad_u64_u32 v[2:3], s[0:1], s6, v8, v[2:3]
	v_add3_u32 v3, v4, v3, v1
	v_mul_hi_u32 v1, v0, s2
	v_mul_u32_u24_e32 v1, 60, v1
	v_sub_u32_e32 v122, v0, v1
	v_cmp_gt_u64_e32 vcc, s[12:13], v[8:9]
	v_cmp_le_u64_e64 s[0:1], s[12:13], v[8:9]
	v_add_u32_e32 v123, 60, v122
	s_and_saveexec_b64 s[2:3], s[0:1]
	s_xor_b64 s[0:1], exec, s[2:3]
; %bb.10:
	v_add_u32_e32 v125, 60, v122
	v_add_u32_e32 v124, 0x78, v122
; %bb.11:
	s_or_saveexec_b64 s[2:3], s[0:1]
	v_lshl_add_u64 v[0:1], v[2:3], 3, s[10:11]
                                        ; implicit-def: $vgpr16
                                        ; implicit-def: $vgpr5
                                        ; implicit-def: $vgpr68
                                        ; implicit-def: $vgpr3
                                        ; implicit-def: $vgpr65
                                        ; implicit-def: $vgpr78
                                        ; implicit-def: $vgpr73
                                        ; implicit-def: $vgpr86
                                        ; implicit-def: $vgpr77
                                        ; implicit-def: $vgpr96
                                        ; implicit-def: $vgpr6
                                        ; implicit-def: $vgpr8
                                        ; implicit-def: $vgpr12
                                        ; implicit-def: $vgpr10
                                        ; implicit-def: $vgpr14
                                        ; implicit-def: $vgpr66
                                        ; implicit-def: $vgpr30
                                        ; implicit-def: $vgpr24
                                        ; implicit-def: $vgpr22
                                        ; implicit-def: $vgpr26
                                        ; implicit-def: $vgpr74
                                        ; implicit-def: $vgpr44
                                        ; implicit-def: $vgpr40
                                        ; implicit-def: $vgpr34
                                        ; implicit-def: $vgpr42
                                        ; implicit-def: $vgpr82
                                        ; implicit-def: $vgpr60
                                        ; implicit-def: $vgpr52
                                        ; implicit-def: $vgpr50
                                        ; implicit-def: $vgpr58
                                        ; implicit-def: $vgpr70
                                        ; implicit-def: $vgpr20
                                        ; implicit-def: $vgpr18
                                        ; implicit-def: $vgpr80
                                        ; implicit-def: $vgpr88
                                        ; implicit-def: $vgpr98
                                        ; implicit-def: $vgpr36
                                        ; implicit-def: $vgpr28
                                        ; implicit-def: $vgpr46
                                        ; implicit-def: $vgpr38
                                        ; implicit-def: $vgpr54
                                        ; implicit-def: $vgpr56
                                        ; implicit-def: $vgpr32
                                        ; implicit-def: $vgpr48
                                        ; implicit-def: $vgpr62
	s_xor_b64 exec, exec, s[2:3]
	s_cbranch_execz .LBB0_15
; %bb.12:
	v_mad_u64_u32 v[2:3], s[0:1], s8, v122, 0
	v_mov_b32_e32 v4, v3
	v_mad_u64_u32 v[4:5], s[0:1], s9, v122, v[4:5]
	v_add_u32_e32 v7, 0xd8, v122
	v_mov_b32_e32 v3, v4
	v_mad_u64_u32 v[4:5], s[0:1], s8, v7, 0
	v_mov_b32_e32 v6, v5
	v_mad_u64_u32 v[6:7], s[0:1], s9, v7, v[6:7]
	v_add_u32_e32 v9, 0x1b0, v122
	v_mov_b32_e32 v5, v6
	;; [unrolled: 5-line block ×7, first 2 shown]
	v_mad_u64_u32 v[16:17], s[0:1], s8, v19, 0
	v_mov_b32_e32 v18, v17
	v_mad_u64_u32 v[18:19], s[0:1], s9, v19, v[18:19]
	v_or_b32_e32 v21, 0x6c0, v122
	v_mov_b32_e32 v17, v18
	v_mad_u64_u32 v[18:19], s[0:1], s8, v21, 0
	v_mov_b32_e32 v20, v19
	v_mad_u64_u32 v[20:21], s[0:1], s9, v21, v[20:21]
	v_add_u32_e32 v23, 0x798, v122
	v_mov_b32_e32 v19, v20
	v_mad_u64_u32 v[20:21], s[0:1], s8, v23, 0
	v_mov_b32_e32 v22, v21
	v_mad_u64_u32 v[22:23], s[0:1], s9, v23, v[22:23]
	;; [unrolled: 2-line block ×4, first 2 shown]
	v_add_u32_e32 v27, 0x114, v122
	v_mov_b32_e32 v23, v24
	v_mad_u64_u32 v[24:25], s[0:1], s8, v27, 0
	v_mov_b32_e32 v26, v25
	v_mad_u64_u32 v[26:27], s[0:1], s9, v27, v[26:27]
	v_add_u32_e32 v29, 0x1ec, v122
	v_mov_b32_e32 v25, v26
	v_mad_u64_u32 v[26:27], s[0:1], s8, v29, 0
	v_mov_b32_e32 v28, v27
	v_mad_u64_u32 v[28:29], s[0:1], s9, v29, v[28:29]
	;; [unrolled: 5-line block ×7, first 2 shown]
	v_add_u32_e32 v39, 0x6fc, v122
	v_mad_u64_u32 v[40:41], s[0:1], s8, v39, 0
	v_mov_b32_e32 v37, v38
	v_mov_b32_e32 v38, v41
	v_mad_u64_u32 v[38:39], s[0:1], s9, v39, v[38:39]
	v_add_u32_e32 v39, 0x7d4, v122
	v_mad_u64_u32 v[42:43], s[0:1], s8, v39, 0
	v_mov_b32_e32 v41, v38
	v_mov_b32_e32 v38, v43
	v_mad_u64_u32 v[38:39], s[0:1], s9, v39, v[38:39]
	v_add_u32_e32 v124, 0x78, v122
	v_mov_b32_e32 v43, v38
	v_mad_u64_u32 v[38:39], s[0:1], s8, v124, 0
	v_mov_b32_e32 v44, v39
	v_mad_u64_u32 v[44:45], s[0:1], s9, v124, v[44:45]
	v_mov_b32_e32 v39, v44
	v_lshl_add_u64 v[64:65], v[38:39], 3, v[0:1]
	v_add_u32_e32 v39, 0x150, v122
	v_mad_u64_u32 v[66:67], s[0:1], s8, v39, 0
	v_mov_b32_e32 v38, v67
	v_mad_u64_u32 v[38:39], s[0:1], s9, v39, v[38:39]
	v_add_u32_e32 v39, 0x228, v122
	v_mad_u64_u32 v[68:69], s[0:1], s8, v39, 0
	v_mov_b32_e32 v67, v38
	v_mov_b32_e32 v38, v69
	v_mad_u64_u32 v[38:39], s[0:1], s9, v39, v[38:39]
	v_or_b32_e32 v39, 0x300, v122
	v_mad_u64_u32 v[70:71], s[0:1], s8, v39, 0
	v_mov_b32_e32 v69, v38
	v_mov_b32_e32 v38, v71
	v_mad_u64_u32 v[38:39], s[0:1], s9, v39, v[38:39]
	v_add_u32_e32 v39, 0x3d8, v122
	v_mad_u64_u32 v[72:73], s[0:1], s8, v39, 0
	v_mov_b32_e32 v71, v38
	v_mov_b32_e32 v38, v73
	v_mad_u64_u32 v[38:39], s[0:1], s9, v39, v[38:39]
	v_add_u32_e32 v39, 0x4b0, v122
	;; [unrolled: 5-line block ×5, first 2 shown]
	v_mad_u64_u32 v[94:95], s[0:1], s8, v39, 0
	v_mov_b32_e32 v83, v38
	v_mov_b32_e32 v38, v95
	v_mad_u64_u32 v[38:39], s[0:1], s9, v39, v[38:39]
	v_lshl_add_u64 v[18:19], v[18:19], 3, v[0:1]
	v_lshl_add_u64 v[2:3], v[2:3], 3, v[0:1]
	v_add_u32_e32 v39, 0x810, v122
	global_load_dwordx2 v[54:55], v[18:19], off
	v_lshl_add_u64 v[18:19], v[24:25], 3, v[0:1]
	v_lshl_add_u64 v[22:23], v[22:23], 3, v[0:1]
	v_mad_u64_u32 v[100:101], s[0:1], s8, v39, 0
	v_lshl_add_u64 v[20:21], v[20:21], 3, v[0:1]
	global_load_dwordx2 v[86:87], v[18:19], off
	global_load_dwordx2 v[84:85], v[22:23], off
	;; [unrolled: 1-line block ×3, first 2 shown]
	v_lshl_add_u64 v[4:5], v[4:5], 3, v[0:1]
	v_lshl_add_u64 v[6:7], v[6:7], 3, v[0:1]
	;; [unrolled: 1-line block ×3, first 2 shown]
	global_load_dwordx2 v[90:91], v[2:3], off
	global_load_dwordx2 v[96:97], v[4:5], off
	;; [unrolled: 1-line block ×4, first 2 shown]
	v_lshl_add_u64 v[2:3], v[10:11], 3, v[0:1]
	v_mov_b32_e32 v95, v38
	v_mov_b32_e32 v38, v101
	global_load_dwordx2 v[60:61], v[2:3], off
	v_lshl_add_u64 v[2:3], v[12:13], 3, v[0:1]
	v_lshl_add_u64 v[6:7], v[16:17], 3, v[0:1]
	v_mad_u64_u32 v[38:39], s[0:1], s9, v39, v[38:39]
	v_lshl_add_u64 v[4:5], v[14:15], 3, v[0:1]
	global_load_dwordx2 v[52:53], v[6:7], off
	global_load_dwordx2 v[56:57], v[4:5], off
	;; [unrolled: 1-line block ×3, first 2 shown]
	v_lshl_add_u64 v[2:3], v[26:27], 3, v[0:1]
	v_lshl_add_u64 v[6:7], v[30:31], 3, v[0:1]
	v_lshl_add_u64 v[10:11], v[34:35], 3, v[0:1]
	v_mov_b32_e32 v101, v38
	v_lshl_add_u64 v[4:5], v[28:29], 3, v[0:1]
	v_lshl_add_u64 v[8:9], v[32:33], 3, v[0:1]
	global_load_dwordx2 v[38:39], v[10:11], off
	v_lshl_add_u64 v[10:11], v[36:37], 3, v[0:1]
	v_lshl_add_u64 v[12:13], v[40:41], 3, v[0:1]
	v_lshl_add_u64 v[14:15], v[42:43], 3, v[0:1]
	global_load_dwordx2 v[48:49], v[2:3], off
	global_load_dwordx2 v[88:89], v[4:5], off
	global_load_dwordx2 v[44:45], v[6:7], off
	global_load_dwordx2 v[42:43], v[8:9], off
	global_load_dwordx2 v[34:35], v[14:15], off
	global_load_dwordx2 v[46:47], v[12:13], off
	global_load_dwordx2 v[40:41], v[10:11], off
	v_lshl_add_u64 v[2:3], v[66:67], 3, v[0:1]
	v_lshl_add_u64 v[6:7], v[70:71], 3, v[0:1]
	;; [unrolled: 1-line block ×3, first 2 shown]
	global_load_dwordx2 v[92:93], v[64:65], off
	global_load_dwordx2 v[78:79], v[2:3], off
	;; [unrolled: 1-line block ×4, first 2 shown]
	v_lshl_add_u64 v[2:3], v[72:73], 3, v[0:1]
	v_lshl_add_u64 v[6:7], v[82:83], 3, v[0:1]
	global_load_dwordx2 v[30:31], v[2:3], off
	v_lshl_add_u64 v[2:3], v[74:75], 3, v[0:1]
	v_lshl_add_u64 v[4:5], v[76:77], 3, v[0:1]
	;; [unrolled: 1-line block ×4, first 2 shown]
	global_load_dwordx2 v[24:25], v[6:7], off
	global_load_dwordx2 v[28:29], v[4:5], off
	;; [unrolled: 1-line block ×5, first 2 shown]
	v_cmp_gt_u32_e64 s[0:1], 36, v122
                                        ; implicit-def: $vgpr19
                                        ; implicit-def: $vgpr21
                                        ; implicit-def: $vgpr2
                                        ; implicit-def: $vgpr70
                                        ; implicit-def: $vgpr15
                                        ; implicit-def: $vgpr11
                                        ; implicit-def: $vgpr13
                                        ; implicit-def: $vgpr9
                                        ; implicit-def: $vgpr7
                                        ; implicit-def: $vgpr68
                                        ; implicit-def: $vgpr5
                                        ; implicit-def: $vgpr16
	s_and_saveexec_b64 s[6:7], s[0:1]
	s_cbranch_execz .LBB0_14
; %bb.13:
	v_add_u32_e32 v5, 0xb4, v122
	v_mad_u64_u32 v[2:3], s[0:1], s8, v5, 0
	v_mov_b32_e32 v4, v3
	v_mad_u64_u32 v[4:5], s[0:1], s9, v5, v[4:5]
	v_mov_b32_e32 v3, v4
	v_add_u32_e32 v7, 0x18c, v122
	v_lshl_add_u64 v[4:5], v[2:3], 3, v[0:1]
	v_mad_u64_u32 v[2:3], s[0:1], s8, v7, 0
	v_mov_b32_e32 v6, v3
	v_mad_u64_u32 v[6:7], s[0:1], s9, v7, v[6:7]
	v_mov_b32_e32 v3, v6
	v_add_u32_e32 v7, 0x264, v122
	v_lshl_add_u64 v[8:9], v[2:3], 3, v[0:1]
	;; [unrolled: 6-line block ×3, first 2 shown]
	v_mad_u64_u32 v[2:3], s[0:1], s8, v7, 0
	v_mov_b32_e32 v6, v3
	v_mad_u64_u32 v[6:7], s[0:1], s9, v7, v[6:7]
	v_mov_b32_e32 v3, v6
	v_lshl_add_u64 v[12:13], v[2:3], 3, v[0:1]
	global_load_dwordx2 v[2:3], v[4:5], off
	global_load_dwordx2 v[68:69], v[8:9], off
	;; [unrolled: 1-line block ×4, first 2 shown]
	v_add_u32_e32 v9, 0x414, v122
	v_mad_u64_u32 v[4:5], s[0:1], s8, v9, 0
	v_mov_b32_e32 v8, v5
	v_mad_u64_u32 v[8:9], s[0:1], s9, v9, v[8:9]
	v_mov_b32_e32 v5, v8
	v_lshl_add_u64 v[4:5], v[4:5], 3, v[0:1]
	v_add_u32_e32 v11, 0x4ec, v122
	global_load_dwordx2 v[8:9], v[4:5], off
	v_mad_u64_u32 v[4:5], s[0:1], s8, v11, 0
	v_mov_b32_e32 v10, v5
	v_mad_u64_u32 v[10:11], s[0:1], s9, v11, v[10:11]
	v_mov_b32_e32 v5, v10
	v_add_u32_e32 v11, 0x5c4, v122
	v_lshl_add_u64 v[16:17], v[4:5], 3, v[0:1]
	v_mad_u64_u32 v[4:5], s[0:1], s8, v11, 0
	v_mov_b32_e32 v10, v5
	v_mad_u64_u32 v[10:11], s[0:1], s9, v11, v[10:11]
	v_add_u32_e32 v13, 0x69c, v122
	v_mov_b32_e32 v5, v10
	v_mad_u64_u32 v[10:11], s[0:1], s8, v13, 0
	v_mov_b32_e32 v12, v11
	v_mad_u64_u32 v[12:13], s[0:1], s9, v13, v[12:13]
	v_mov_b32_e32 v11, v12
	v_add_u32_e32 v13, 0x774, v122
	v_lshl_add_u64 v[18:19], v[10:11], 3, v[0:1]
	v_mad_u64_u32 v[10:11], s[0:1], s8, v13, 0
	v_mov_b32_e32 v12, v11
	v_mad_u64_u32 v[12:13], s[0:1], s9, v13, v[12:13]
	v_mov_b32_e32 v11, v12
	v_lshl_add_u64 v[4:5], v[4:5], 3, v[0:1]
	v_lshl_add_u64 v[10:11], v[10:11], 3, v[0:1]
	v_add_u32_e32 v13, 0x84c, v122
	global_load_dwordx2 v[64:65], v[10:11], off
	s_nop 0
	global_load_dwordx2 v[4:5], v[4:5], off
	v_mad_u64_u32 v[10:11], s[0:1], s8, v13, 0
	v_mov_b32_e32 v12, v11
	v_mad_u64_u32 v[12:13], s[0:1], s9, v13, v[12:13]
	v_mov_b32_e32 v11, v12
	v_lshl_add_u64 v[20:21], v[10:11], 3, v[0:1]
	global_load_dwordx2 v[12:13], v[18:19], off
	global_load_dwordx2 v[14:15], v[16:17], off
	;; [unrolled: 1-line block ×3, first 2 shown]
	s_waitcnt vmcnt(7)
	v_mov_b32_e32 v18, v6
	s_waitcnt vmcnt(6)
	v_mov_b32_e32 v6, v71
	;; [unrolled: 2-line block ×3, first 2 shown]
	v_mov_b32_e32 v8, v69
	s_waitcnt vmcnt(4)
	v_mov_b32_e32 v19, v64
	v_mov_b32_e32 v16, v65
	s_waitcnt vmcnt(3)
	v_mov_b32_e32 v21, v4
.LBB0_14:
	s_or_b64 exec, exec, s[6:7]
	v_mov_b32_e32 v125, v123
	s_waitcnt vmcnt(5)
	v_mov_b32_e32 v65, v30
	v_mov_b32_e32 v73, v44
	v_mov_b32_e32 v77, v60
	v_mov_b32_e32 v66, v81
	v_mov_b32_e32 v67, v33
	v_mov_b32_e32 v30, v79
	v_mov_b32_e32 v74, v89
	v_mov_b32_e32 v75, v49
	v_mov_b32_e32 v44, v87
	v_mov_b32_e32 v82, v99
	v_mov_b32_e32 v83, v63
	v_mov_b32_e32 v60, v97
	v_mov_b32_e32 v81, v92
	v_mov_b32_e32 v89, v84
	v_mov_b32_e32 v99, v90
	v_mov_b32_e32 v33, v93
	v_mov_b32_e32 v49, v85
	v_mov_b32_e32 v63, v91
.LBB0_15:
	s_or_b64 exec, exec, s[2:3]
	v_mov_b32_e32 v84, v50
	v_mov_b32_e32 v85, v98
	;; [unrolled: 1-line block ×4, first 2 shown]
	v_pk_add_f32 v[84:85], v[84:85], v[90:91] neg_lo:[0,1] neg_hi:[0,1]
	v_mov_b32_e32 v90, v98
	v_mov_b32_e32 v91, v82
	v_pk_add_f32 v[92:93], v[52:53], v[50:51] neg_lo:[0,1] neg_hi:[0,1]
	v_pk_add_f32 v[94:95], v[58:59], v[90:91] neg_lo:[0,1] neg_hi:[0,1]
	s_mov_b32 s3, 0x3f737871
	s_mov_b32 s6, 0x3e9e377a
	v_pk_add_f32 v[92:93], v[92:93], v[94:95]
	v_mov_b32_e32 v97, v60
	v_pk_add_f32 v[94:95], v[50:51], v[90:91]
	s_mov_b32 s0, s3
	v_pk_add_f32 v[102:103], v[58:59], v[52:53] neg_lo:[0,1] neg_hi:[0,1]
	s_mov_b32 s7, 0x3f167918
	v_pk_fma_f32 v[94:95], v[94:95], 0.5, v[96:97] op_sel_hi:[1,0,1] neg_lo:[1,0,0] neg_hi:[1,0,0]
	v_pk_mul_f32 v[100:101], v[102:103], s[0:1] op_sel_hi:[1,0]
	v_pk_add_f32 v[106:107], v[90:91], v[50:51] neg_lo:[0,1] neg_hi:[0,1]
	s_mov_b32 s10, s7
	v_pk_add_f32 v[104:105], v[100:101], v[94:95] op_sel:[1,0] op_sel_hi:[0,1]
	v_pk_add_f32 v[94:95], v[94:95], v[100:101] op_sel:[0,1] op_sel_hi:[1,0] neg_lo:[0,1] neg_hi:[0,1]
	v_pk_mul_f32 v[90:91], v[106:107], s[10:11] op_sel_hi:[1,0]
	v_mov_b32_e32 v108, v61
	v_pk_add_f32 v[100:101], v[104:105], v[90:91] op_sel:[0,1] op_sel_hi:[1,0] neg_lo:[0,1] neg_hi:[0,1]
	v_pk_add_f32 v[94:95], v[90:91], v[94:95] op_sel:[1,0] op_sel_hi:[0,1]
	v_pk_fma_f32 v[90:91], v[92:93], s[6:7], v[100:101] op_sel_hi:[1,0,1]
	v_pk_fma_f32 v[92:93], v[92:93], s[6:7], v[94:95] op_sel_hi:[1,0,1]
	v_pk_add_f32 v[94:95], v[50:51], v[52:53] neg_lo:[0,1] neg_hi:[0,1]
	v_pk_add_f32 v[100:101], v[82:83], v[58:59] op_sel_hi:[0,1] neg_lo:[0,1] neg_hi:[0,1]
	v_mov_b32_e32 v94, v84
	v_mov_b32_e32 v100, v85
	v_pk_add_f32 v[84:85], v[52:53], v[58:59]
	v_pk_add_f32 v[100:101], v[94:95], v[100:101]
	v_pk_fma_f32 v[84:85], v[84:85], 0.5, v[96:97] op_sel_hi:[1,0,1] neg_lo:[1,0,0] neg_hi:[1,0,0]
	v_pk_mul_f32 v[94:95], v[106:107], s[0:1] op_sel_hi:[1,0]
	v_pk_add_f32 v[106:107], v[82:83], v[62:63]
	v_pk_add_f32 v[104:105], v[94:95], v[84:85] op_sel:[1,0] op_sel_hi:[0,1]
	v_pk_add_f32 v[84:85], v[84:85], v[94:95] op_sel:[0,1] op_sel_hi:[1,0] neg_lo:[0,1] neg_hi:[0,1]
	v_pk_mul_f32 v[94:95], v[102:103], s[10:11] op_sel_hi:[1,0]
	v_add_f32_e32 v4, v56, v77
	v_pk_add_f32 v[84:85], v[84:85], v[94:95] op_sel:[0,1] op_sel_hi:[1,0] neg_lo:[0,1] neg_hi:[0,1]
	v_pk_add_f32 v[102:103], v[104:105], v[94:95] op_sel:[0,1] op_sel_hi:[1,0]
	v_mov_b32_e32 v94, v62
	v_mov_b32_e32 v102, v84
	;; [unrolled: 1-line block ×3, first 2 shown]
	v_pk_mul_f32 v[106:107], v[100:101], s[6:7] op_sel_hi:[1,0]
	v_mov_b32_e32 v105, v104
	v_mov_b32_e32 v104, v99
	;; [unrolled: 1-line block ×3, first 2 shown]
	v_pk_add_f32 v[94:95], v[94:95], v[104:105]
	v_mov_b32_e32 v105, v106
	v_mov_b32_e32 v104, v77
	v_pk_add_f32 v[84:85], v[108:109], v[84:85]
	v_pk_add_f32 v[94:95], v[104:105], v[94:95]
	v_mov_b32_e32 v109, 0x3f4f1bbd
	v_mov_b32_e32 v108, v56
	v_pk_add_f32 v[104:105], v[56:57], v[94:95]
	v_pk_mul_f32 v[106:107], v[108:109], v[94:95]
	v_mul_f32_e32 v97, 0.5, v4
	v_mov_b32_e32 v105, v107
	v_mul_f32_e32 v107, 0x3f167918, v85
	v_mov_b32_e32 v106, v54
	v_add_f32_e32 v4, v54, v62
	v_pk_add_f32 v[104:105], v[106:107], v[104:105]
	v_pk_add_f32 v[106:107], v[98:99], v[96:97]
	v_pk_add_f32 v[110:111], v[98:99], v[96:97] neg_lo:[0,1] neg_hi:[0,1]
	v_mov_b32_e32 v98, v83
	v_mul_f32_e32 v97, 0.5, v4
	v_mov_b32_e32 v96, v55
	v_mov_b32_e32 v112, v54
	;; [unrolled: 1-line block ×4, first 2 shown]
	v_pk_add_f32 v[98:99], v[98:99], v[96:97] neg_lo:[0,1] neg_hi:[0,1]
	v_pk_add_f32 v[96:97], v[112:113], v[76:77] neg_lo:[0,1] neg_hi:[0,1]
	v_mov_b32_e32 v115, v57
	v_mov_b32_e32 v114, v97
	v_pk_add_f32 v[116:117], v[96:97], v[114:115]
	v_pk_add_f32 v[96:97], v[60:61], v[114:115] neg_lo:[0,1] neg_hi:[0,1]
	v_pk_mul_f32 v[114:115], v[98:99], s[10:11]
	v_mov_b32_e32 v117, v97
	v_mov_b32_e32 v115, v114
	v_fmamk_f32 v114, v97, 0xbf737871, v99
	v_mul_f32_e32 v97, 0x3f737871, v97
	v_mov_b32_e32 v96, 0x3f167918
	v_pk_add_f32 v[118:119], v[98:99], v[96:97]
	v_pk_add_f32 v[112:113], v[76:77], v[112:113] neg_lo:[0,1] neg_hi:[0,1]
	v_pk_add_f32 v[118:119], v[118:119], v[114:115] neg_lo:[0,1] neg_hi:[0,1]
	v_pk_fma_f32 v[114:115], v[98:99], v[96:97], v[114:115]
	v_add_f32_e32 v4, v112, v113
	v_mov_b32_e32 v115, v119
	v_mul_f32_e32 v4, 0x3e9e377a, v4
	v_pk_add_f32 v[112:113], v[4:5], v[114:115] op_sel_hi:[0,1]
	v_mov_b32_e32 v107, v111
	v_mul_f32_e32 v115, 0x3f737871, v98
	v_mov_b32_e32 v114, v58
	v_pk_add_f32 v[106:107], v[114:115], v[106:107]
	v_pk_mul_f32 v[114:115], v[116:117], s[6:7]
	v_mov_b32_e32 v116, v52
	v_mov_b32_e32 v117, v115
	v_pk_add_f32 v[106:107], v[116:117], v[106:107]
	v_mov_b32_e32 v116, v50
	v_mov_b32_e32 v117, v114
	s_mov_b32 s2, s6
	v_pk_add_f32 v[116:117], v[116:117], v[106:107]
	v_pk_mul_f32 v[106:107], v[90:91], s[2:3]
	v_mad_u32_u24 v126, v122, 40, 0
	v_pk_fma_f32 v[118:119], v[92:93], s[2:3], v[106:107] op_sel:[0,0,1] op_sel_hi:[1,1,0]
	v_pk_fma_f32 v[120:121], v[92:93], s[2:3], v[106:107] op_sel:[0,0,1] op_sel_hi:[1,1,0] neg_lo:[0,0,1] neg_hi:[0,0,1]
	v_pk_add_f32 v[128:129], v[116:117], v[104:105]
	v_mov_b32_e32 v119, v121
	v_pk_add_f32 v[106:107], v[112:113], v[118:119]
	v_fmac_f32_e32 v111, 0xbf737871, v98
	ds_write2_b64 v126, v[128:129], v[106:107] offset1:1
	v_pk_fma_f32 v[106:107], v[100:101], s[6:7], v[102:103] op_sel_hi:[1,0,1]
	v_sub_f32_e32 v4, v111, v115
	v_add_f32_e32 v100, v114, v4
	v_mul_f32_e32 v4, 0x3f4f1bbd, v106
	v_mov_b32_e32 v101, v104
	v_mov_b32_e32 v98, v105
	;; [unrolled: 1-line block ×6, first 2 shown]
	v_fma_f32 v110, v107, s7, -v4
	v_pk_add_f32 v[98:99], v[102:103], v[98:99] neg_lo:[0,1] neg_hi:[0,1]
	v_pk_add_f32 v[102:103], v[100:101], v[110:111]
	v_pk_add_f32 v[104:105], v[100:101], v[110:111] neg_lo:[0,1] neg_hi:[0,1]
	v_mov_b32_e32 v87, v44
	v_mov_b32_e32 v103, v105
	ds_write2_b64 v126, v[102:103], v[98:99] offset0:2 offset1:3
	v_mov_b32_e32 v98, v88
	v_mov_b32_e32 v99, v74
	v_pk_add_f32 v[102:103], v[40:41], v[34:35] neg_lo:[0,1] neg_hi:[0,1]
	v_pk_add_f32 v[104:105], v[42:43], v[98:99] neg_lo:[0,1] neg_hi:[0,1]
	;; [unrolled: 1-line block ×3, first 2 shown]
	v_pk_add_f32 v[104:105], v[102:103], v[104:105]
	v_pk_add_f32 v[102:103], v[34:35], v[98:99]
	v_pk_mul_f32 v[116:117], v[114:115], s[0:1] op_sel_hi:[1,0]
	v_pk_fma_f32 v[102:103], v[102:103], 0.5, v[86:87] op_sel_hi:[1,0,1] neg_lo:[1,0,0] neg_hi:[1,0,0]
	v_pk_mul_f32 v[114:115], v[114:115], s[10:11] op_sel_hi:[1,0]
	v_pk_add_f32 v[118:119], v[116:117], v[102:103] op_sel:[1,0] op_sel_hi:[0,1]
	v_pk_add_f32 v[102:103], v[102:103], v[116:117] op_sel:[0,1] op_sel_hi:[1,0] neg_lo:[0,1] neg_hi:[0,1]
	v_pk_add_f32 v[116:117], v[98:99], v[34:35] neg_lo:[0,1] neg_hi:[0,1]
	v_pk_add_f32 v[98:99], v[98:99], v[42:43] neg_lo:[0,1] neg_hi:[0,1]
	v_pk_mul_f32 v[128:129], v[116:117], s[10:11] op_sel_hi:[1,0]
	v_pk_mul_f32 v[116:117], v[116:117], s[0:1] op_sel_hi:[1,0]
	v_pk_add_f32 v[118:119], v[118:119], v[128:129] op_sel:[0,1] op_sel_hi:[1,0] neg_lo:[0,1] neg_hi:[0,1]
	v_pk_add_f32 v[128:129], v[128:129], v[102:103] op_sel:[1,0] op_sel_hi:[0,1]
	v_pk_fma_f32 v[102:103], v[104:105], s[6:7], v[118:119] op_sel_hi:[1,0,1]
	v_pk_add_f32 v[118:119], v[34:35], v[40:41] neg_lo:[0,1] neg_hi:[0,1]
	v_pk_fma_f32 v[104:105], v[104:105], s[6:7], v[128:129] op_sel_hi:[1,0,1]
	v_pk_add_f32 v[118:119], v[118:119], v[98:99]
	v_pk_add_f32 v[98:99], v[40:41], v[42:43]
	v_mov_b32_e32 v112, v113
	v_pk_fma_f32 v[98:99], v[98:99], 0.5, v[86:87] op_sel_hi:[1,0,1] neg_lo:[1,0,0] neg_hi:[1,0,0]
	v_mov_b32_e32 v113, v100
	v_pk_add_f32 v[128:129], v[116:117], v[98:99] op_sel:[1,0] op_sel_hi:[0,1]
	v_pk_add_f32 v[98:99], v[98:99], v[116:117] op_sel:[0,1] op_sel_hi:[1,0] neg_lo:[0,1] neg_hi:[0,1]
	v_mov_b32_e32 v100, v121
	v_mov_b32_e32 v101, v110
	v_pk_add_f32 v[98:99], v[98:99], v[114:115] op_sel:[0,1] op_sel_hi:[1,0] neg_lo:[0,1] neg_hi:[0,1]
	v_pk_add_f32 v[116:117], v[128:129], v[114:115] op_sel:[0,1] op_sel_hi:[1,0]
	v_pk_add_f32 v[130:131], v[74:75], v[48:49]
	v_pk_add_f32 v[100:101], v[112:113], v[100:101] neg_lo:[0,1] neg_hi:[0,1]
	v_mov_b32_e32 v116, v98
	v_mov_b32_e32 v98, v131
	v_pk_mul_f32 v[130:131], v[118:119], s[6:7] op_sel_hi:[1,0]
	ds_write_b64 v126, v[100:101] offset:32
	v_mov_b32_e32 v114, v48
	v_mov_b32_e32 v101, v128
	;; [unrolled: 1-line block ×3, first 2 shown]
	v_pk_add_f32 v[100:101], v[114:115], v[100:101]
	v_mov_b32_e32 v111, v130
	v_mov_b32_e32 v110, v73
	v_mov_b32_e32 v132, v45
	v_mov_b32_e32 v133, v131
	v_pk_add_f32 v[100:101], v[110:111], v[100:101]
	v_mov_b32_e32 v108, v38
	v_pk_add_f32 v[98:99], v[132:133], v[98:99]
	v_pk_add_f32 v[110:111], v[38:39], v[100:101]
	v_pk_mul_f32 v[112:113], v[108:109], v[100:101]
	v_add_f32_e32 v4, v38, v73
	v_mov_b32_e32 v111, v113
	v_mul_f32_e32 v113, 0x3f167918, v99
	v_mov_b32_e32 v112, v46
	v_mul_f32_e32 v87, 0.5, v4
	v_add_f32_e32 v4, v46, v48
	v_pk_add_f32 v[110:111], v[112:113], v[110:111]
	v_pk_add_f32 v[112:113], v[88:89], v[86:87]
	v_pk_add_f32 v[86:87], v[88:89], v[86:87] neg_lo:[0,1] neg_hi:[0,1]
	v_mov_b32_e32 v88, v75
	v_mul_f32_e32 v115, 0.5, v4
	v_mov_b32_e32 v114, v47
	v_pk_add_f32 v[88:89], v[88:89], v[114:115] neg_lo:[0,1] neg_hi:[0,1]
	v_mov_b32_e32 v114, v46
	v_mov_b32_e32 v115, v48
	;; [unrolled: 1-line block ×3, first 2 shown]
	v_pk_add_f32 v[120:121], v[114:115], v[72:73] neg_lo:[0,1] neg_hi:[0,1]
	v_mov_b32_e32 v129, v39
	v_mov_b32_e32 v128, v121
	v_pk_add_f32 v[120:121], v[120:121], v[128:129]
	v_pk_add_f32 v[128:129], v[44:45], v[128:129] neg_lo:[0,1] neg_hi:[0,1]
	v_pk_add_f32 v[114:115], v[72:73], v[114:115] neg_lo:[0,1] neg_hi:[0,1]
	v_mov_b32_e32 v121, v129
	v_add_f32_e32 v4, v114, v115
	v_mov_b32_e32 v113, v87
	v_mul_f32_e32 v115, 0x3f737871, v88
	v_mov_b32_e32 v114, v42
	v_pk_mul_f32 v[130:131], v[88:89], s[10:11]
	v_mul_f32_e32 v97, 0x3f737871, v129
	v_pk_add_f32 v[112:113], v[114:115], v[112:113]
	v_pk_mul_f32 v[114:115], v[120:121], s[6:7]
	v_mov_b32_e32 v131, v130
	v_fmamk_f32 v130, v129, 0xbf737871, v89
	v_pk_add_f32 v[128:129], v[88:89], v[96:97]
	v_mov_b32_e32 v120, v40
	v_mov_b32_e32 v121, v115
	v_pk_add_f32 v[128:129], v[128:129], v[130:131] neg_lo:[0,1] neg_hi:[0,1]
	v_pk_fma_f32 v[130:131], v[88:89], v[96:97], v[130:131]
	v_pk_add_f32 v[112:113], v[120:121], v[112:113]
	v_mov_b32_e32 v120, v34
	v_mov_b32_e32 v121, v114
	;; [unrolled: 1-line block ×3, first 2 shown]
	v_mul_f32_e32 v4, 0x3e9e377a, v4
	v_pk_add_f32 v[112:113], v[120:121], v[112:113]
	v_pk_mul_f32 v[120:121], v[102:103], s[2:3]
	v_fmac_f32_e32 v87, 0xbf737871, v88
	v_pk_add_f32 v[128:129], v[4:5], v[130:131] op_sel_hi:[0,1]
	v_pk_fma_f32 v[130:131], v[104:105], s[2:3], v[120:121] op_sel:[0,0,1] op_sel_hi:[1,1,0]
	v_pk_fma_f32 v[116:117], v[118:119], s[6:7], v[116:117] op_sel_hi:[1,0,1]
	v_sub_f32_e32 v4, v87, v115
	v_pk_add_f32 v[134:135], v[112:113], v[110:111]
	v_add_f32_e32 v86, v114, v4
	v_mov_b32_e32 v87, v110
	v_mov_b32_e32 v88, v111
	;; [unrolled: 1-line block ×5, first 2 shown]
	v_mul_f32_e32 v4, 0x3f4f1bbd, v116
	v_pk_add_f32 v[88:89], v[110:111], v[88:89] neg_lo:[0,1] neg_hi:[0,1]
	v_mov_b32_e32 v111, v112
	v_fma_f32 v110, v117, s7, -v4
	v_pk_add_f32 v[112:113], v[86:87], v[110:111]
	v_pk_add_f32 v[114:115], v[86:87], v[110:111] neg_lo:[0,1] neg_hi:[0,1]
	v_mad_i32_i24 v94, v125, 40, 0
	v_mov_b32_e32 v113, v115
	ds_write2_b64 v94, v[112:113], v[88:89] offset0:2 offset1:3
	v_mov_b32_e32 v88, v80
	v_mov_b32_e32 v89, v66
	v_pk_fma_f32 v[120:121], v[104:105], s[2:3], v[120:121] op_sel:[0,0,1] op_sel_hi:[1,1,0] neg_lo:[0,0,1] neg_hi:[0,0,1]
	s_waitcnt vmcnt(0)
	v_pk_add_f32 v[112:113], v[24:25], v[22:23] neg_lo:[0,1] neg_hi:[0,1]
	v_pk_add_f32 v[114:115], v[26:27], v[88:89] neg_lo:[0,1] neg_hi:[0,1]
	v_mov_b32_e32 v131, v121
	v_pk_add_f32 v[114:115], v[112:113], v[114:115]
	v_mov_b32_e32 v79, v30
	v_pk_add_f32 v[112:113], v[22:23], v[88:89]
	v_pk_add_f32 v[118:119], v[26:27], v[24:25] neg_lo:[0,1] neg_hi:[0,1]
	v_pk_add_f32 v[132:133], v[128:129], v[130:131]
	v_pk_fma_f32 v[112:113], v[112:113], 0.5, v[78:79] op_sel_hi:[1,0,1] neg_lo:[1,0,0] neg_hi:[1,0,0]
	v_pk_mul_f32 v[130:131], v[118:119], s[0:1] op_sel_hi:[1,0]
	ds_write2_b64 v94, v[134:135], v[132:133] offset1:1
	v_pk_add_f32 v[132:133], v[130:131], v[112:113] op_sel:[1,0] op_sel_hi:[0,1]
	v_pk_add_f32 v[112:113], v[112:113], v[130:131] op_sel:[0,1] op_sel_hi:[1,0] neg_lo:[0,1] neg_hi:[0,1]
	v_pk_add_f32 v[130:131], v[88:89], v[22:23] neg_lo:[0,1] neg_hi:[0,1]
	v_pk_add_f32 v[88:89], v[88:89], v[26:27] neg_lo:[0,1] neg_hi:[0,1]
	v_pk_mul_f32 v[134:135], v[130:131], s[10:11] op_sel_hi:[1,0]
	v_pk_mul_f32 v[130:131], v[130:131], s[0:1] op_sel_hi:[1,0]
	v_pk_add_f32 v[132:133], v[132:133], v[134:135] op_sel:[0,1] op_sel_hi:[1,0] neg_lo:[0,1] neg_hi:[0,1]
	v_pk_add_f32 v[134:135], v[134:135], v[112:113] op_sel:[1,0] op_sel_hi:[0,1]
	v_pk_fma_f32 v[112:113], v[114:115], s[6:7], v[132:133] op_sel_hi:[1,0,1]
	v_pk_add_f32 v[132:133], v[22:23], v[24:25] neg_lo:[0,1] neg_hi:[0,1]
	v_pk_fma_f32 v[114:115], v[114:115], s[6:7], v[134:135] op_sel_hi:[1,0,1]
	v_pk_add_f32 v[132:133], v[132:133], v[88:89]
	v_pk_add_f32 v[88:89], v[24:25], v[26:27]
	v_pk_mul_f32 v[118:119], v[118:119], s[10:11] op_sel_hi:[1,0]
	v_pk_fma_f32 v[88:89], v[88:89], 0.5, v[78:79] op_sel_hi:[1,0,1] neg_lo:[1,0,0] neg_hi:[1,0,0]
	v_mov_b32_e32 v128, v129
	v_pk_add_f32 v[134:135], v[130:131], v[88:89] op_sel:[1,0] op_sel_hi:[0,1]
	v_pk_add_f32 v[88:89], v[88:89], v[130:131] op_sel:[0,1] op_sel_hi:[1,0] neg_lo:[0,1] neg_hi:[0,1]
	v_mov_b32_e32 v129, v86
	v_mov_b32_e32 v86, v121
	;; [unrolled: 1-line block ×3, first 2 shown]
	v_pk_add_f32 v[88:89], v[88:89], v[118:119] op_sel:[0,1] op_sel_hi:[1,0] neg_lo:[0,1] neg_hi:[0,1]
	v_pk_add_f32 v[130:131], v[134:135], v[118:119] op_sel:[0,1] op_sel_hi:[1,0]
	v_pk_add_f32 v[136:137], v[66:67], v[32:33]
	v_pk_add_f32 v[86:87], v[128:129], v[86:87] neg_lo:[0,1] neg_hi:[0,1]
	v_mov_b32_e32 v130, v88
	v_mov_b32_e32 v88, v137
	v_pk_mul_f32 v[136:137], v[132:133], s[6:7] op_sel_hi:[1,0]
	ds_write_b64 v94, v[86:87] offset:32
	v_mov_b32_e32 v118, v32
	v_mov_b32_e32 v87, v134
	;; [unrolled: 1-line block ×3, first 2 shown]
	v_pk_add_f32 v[86:87], v[118:119], v[86:87]
	v_mov_b32_e32 v111, v136
	v_mov_b32_e32 v110, v65
	;; [unrolled: 1-line block ×4, first 2 shown]
	v_pk_add_f32 v[110:111], v[110:111], v[86:87]
	v_mov_b32_e32 v108, v28
	v_pk_add_f32 v[88:89], v[138:139], v[88:89]
	v_pk_mul_f32 v[86:87], v[108:109], v[110:111]
	v_pk_add_f32 v[108:109], v[28:29], v[110:111]
	v_add_f32_e32 v4, v28, v65
	v_mov_b32_e32 v109, v87
	v_mul_f32_e32 v87, 0x3f167918, v89
	v_mov_b32_e32 v86, v36
	v_mul_f32_e32 v79, 0.5, v4
	v_add_f32_e32 v4, v36, v32
	v_pk_add_f32 v[86:87], v[86:87], v[108:109]
	v_pk_add_f32 v[108:109], v[80:81], v[78:79]
	v_pk_add_f32 v[78:79], v[80:81], v[78:79] neg_lo:[0,1] neg_hi:[0,1]
	v_mov_b32_e32 v80, v67
	v_mul_f32_e32 v119, 0.5, v4
	v_mov_b32_e32 v118, v37
	v_pk_add_f32 v[80:81], v[80:81], v[118:119] neg_lo:[0,1] neg_hi:[0,1]
	v_mov_b32_e32 v118, v36
	v_mov_b32_e32 v119, v32
	;; [unrolled: 1-line block ×3, first 2 shown]
	v_pk_add_f32 v[120:121], v[118:119], v[64:65] neg_lo:[0,1] neg_hi:[0,1]
	v_mov_b32_e32 v129, v29
	v_mov_b32_e32 v128, v121
	v_pk_add_f32 v[120:121], v[120:121], v[128:129]
	v_pk_add_f32 v[128:129], v[30:31], v[128:129] neg_lo:[0,1] neg_hi:[0,1]
	v_pk_mul_f32 v[134:135], v[80:81], s[10:11]
	v_mul_f32_e32 v97, 0x3f737871, v129
	v_mov_b32_e32 v121, v129
	v_mov_b32_e32 v135, v134
	v_fmamk_f32 v134, v129, 0xbf737871, v81
	v_pk_add_f32 v[128:129], v[80:81], v[96:97]
	v_mov_b32_e32 v109, v79
	v_pk_add_f32 v[128:129], v[128:129], v[134:135] neg_lo:[0,1] neg_hi:[0,1]
	v_pk_fma_f32 v[134:135], v[80:81], v[96:97], v[134:135]
	v_mov_b32_e32 v128, v26
	v_mov_b32_e32 v135, v129
	v_mul_f32_e32 v129, 0x3f737871, v80
	v_pk_add_f32 v[108:109], v[128:129], v[108:109]
	v_pk_mul_f32 v[128:129], v[120:121], s[6:7]
	v_pk_add_f32 v[118:119], v[64:65], v[118:119] neg_lo:[0,1] neg_hi:[0,1]
	v_mov_b32_e32 v120, v24
	v_mov_b32_e32 v121, v129
	v_add_f32_e32 v4, v118, v119
	v_pk_add_f32 v[108:109], v[120:121], v[108:109]
	v_mov_b32_e32 v120, v22
	v_mov_b32_e32 v121, v128
	v_mul_f32_e32 v4, 0x3e9e377a, v4
	v_pk_add_f32 v[108:109], v[120:121], v[108:109]
	v_pk_mul_f32 v[120:121], v[112:113], s[2:3]
	v_pk_add_f32 v[118:119], v[4:5], v[134:135] op_sel_hi:[0,1]
	v_pk_fma_f32 v[134:135], v[114:115], s[2:3], v[120:121] op_sel:[0,0,1] op_sel_hi:[1,1,0]
	v_pk_fma_f32 v[136:137], v[114:115], s[2:3], v[120:121] op_sel:[0,0,1] op_sel_hi:[1,1,0] neg_lo:[0,0,1] neg_hi:[0,0,1]
	v_mad_i32_i24 v64, v124, 40, 0
	v_mov_b32_e32 v135, v137
	v_pk_add_f32 v[120:121], v[118:119], v[134:135]
	v_pk_add_f32 v[138:139], v[108:109], v[86:87]
	v_fmac_f32_e32 v79, 0xbf737871, v80
	ds_write2_b64 v64, v[138:139], v[120:121] offset1:1
	v_pk_fma_f32 v[120:121], v[132:133], s[6:7], v[130:131] op_sel_hi:[1,0,1]
	v_sub_f32_e32 v4, v79, v129
	v_add_f32_e32 v128, v128, v4
	v_mul_f32_e32 v4, 0x3f4f1bbd, v120
	v_mov_b32_e32 v129, v86
	v_mov_b32_e32 v78, v87
	;; [unrolled: 1-line block ×6, first 2 shown]
	v_fma_f32 v130, v121, s7, -v4
	v_pk_add_f32 v[78:79], v[80:81], v[78:79] neg_lo:[0,1] neg_hi:[0,1]
	v_pk_add_f32 v[80:81], v[128:129], v[130:131]
	v_pk_add_f32 v[86:87], v[128:129], v[130:131] neg_lo:[0,1] neg_hi:[0,1]
	v_mov_b32_e32 v71, v6
	v_mov_b32_e32 v81, v87
	ds_write2_b64 v64, v[80:81], v[78:79] offset0:2 offset1:3
	v_pk_add_f32 v[78:79], v[70:71], v[14:15] neg_lo:[0,1] neg_hi:[0,1]
	v_pk_add_f32 v[80:81], v[10:11], v[12:13] neg_lo:[0,1] neg_hi:[0,1]
	v_mov_b32_e32 v69, v8
	v_pk_add_f32 v[78:79], v[80:81], v[78:79]
	v_pk_add_f32 v[80:81], v[12:13], v[14:15]
	v_pk_add_f32 v[86:87], v[70:71], v[10:11] neg_lo:[0,1] neg_hi:[0,1]
	v_pk_fma_f32 v[80:81], v[80:81], 0.5, v[68:69] op_sel_hi:[1,0,1] neg_lo:[1,0,0] neg_hi:[1,0,0]
	v_pk_mul_f32 v[108:109], v[86:87], s[0:1] op_sel_hi:[1,0]
	v_pk_mul_f32 v[138:139], v[78:79], s[6:7] op_sel_hi:[1,0]
	v_pk_add_f32 v[132:133], v[108:109], v[80:81] op_sel:[1,0] op_sel_hi:[0,1]
	v_pk_add_f32 v[80:81], v[80:81], v[108:109] op_sel:[0,1] op_sel_hi:[1,0] neg_lo:[0,1] neg_hi:[0,1]
	v_pk_add_f32 v[108:109], v[14:15], v[12:13] neg_lo:[0,1] neg_hi:[0,1]
	v_pk_mul_f32 v[86:87], v[86:87], s[10:11] op_sel_hi:[1,0]
	v_pk_mul_f32 v[134:135], v[108:109], s[10:11] op_sel_hi:[1,0]
	;; [unrolled: 1-line block ×3, first 2 shown]
	v_pk_add_f32 v[132:133], v[134:135], v[132:133] op_sel:[1,0] op_sel_hi:[0,1]
	v_pk_add_f32 v[134:135], v[80:81], v[134:135] op_sel:[0,1] op_sel_hi:[1,0] neg_lo:[0,1] neg_hi:[0,1]
	v_add_f32_e32 v100, v138, v132
	v_mov_b32_e32 v132, v134
	v_pk_fma_f32 v[78:79], v[78:79], s[6:7], v[132:133] op_sel_hi:[1,0,1]
	v_pk_add_f32 v[80:81], v[12:13], v[10:11] neg_lo:[0,1] neg_hi:[0,1]
	v_pk_add_f32 v[132:133], v[14:15], v[70:71] neg_lo:[0,1] neg_hi:[0,1]
	v_mov_b32_e32 v118, v119
	v_pk_add_f32 v[132:133], v[80:81], v[132:133]
	v_pk_add_f32 v[80:81], v[10:11], v[70:71]
	v_mov_b32_e32 v119, v128
	v_pk_fma_f32 v[80:81], v[80:81], 0.5, v[68:69] op_sel_hi:[1,0,1] neg_lo:[1,0,0] neg_hi:[1,0,0]
	v_mov_b32_e32 v128, v137
	v_pk_add_f32 v[140:141], v[108:109], v[80:81] op_sel:[1,0] op_sel_hi:[0,1]
	v_pk_add_f32 v[80:81], v[80:81], v[108:109] op_sel:[0,1] op_sel_hi:[1,0] neg_lo:[0,1] neg_hi:[0,1]
	v_mov_b32_e32 v129, v130
	v_pk_add_f32 v[108:109], v[140:141], v[86:87] op_sel:[0,1] op_sel_hi:[1,0] neg_lo:[0,1] neg_hi:[0,1]
	v_pk_add_f32 v[86:87], v[86:87], v[80:81] op_sel:[1,0] op_sel_hi:[0,1]
	v_add_f32_e32 v134, v7, v3
	v_mov_b32_e32 v138, v9
	v_pk_add_f32 v[118:119], v[118:119], v[128:129] neg_lo:[0,1] neg_hi:[0,1]
	v_pk_fma_f32 v[80:81], v[132:133], s[6:7], v[108:109] op_sel_hi:[1,0,1]
	v_pk_fma_f32 v[86:87], v[132:133], s[6:7], v[86:87] op_sel_hi:[1,0,1]
	v_pk_add_f32 v[108:109], v[138:139], v[134:135]
	ds_write_b64 v64, v[118:119] offset:32
	s_mov_b32 s11, 0x3f4f1bbd
	v_mov_b32_e32 v118, v21
	v_mov_b32_e32 v119, v21
	s_mov_b32 s12, 0xbf737871
	v_cmp_gt_u32_e64 s[0:1], 36, v122
	v_mov_b32_e32 v26, v55
	v_mov_b32_e32 v24, v47
	;; [unrolled: 1-line block ×3, first 2 shown]
	s_and_saveexec_b64 s[14:15], s[0:1]
	s_cbranch_execz .LBB0_17
; %bb.16:
	v_pk_add_f32 v[128:129], v[18:19], v[20:21] neg_lo:[0,1] neg_hi:[0,1]
	v_mov_b32_e32 v71, v2
	v_add_f32_e32 v2, v118, v20
	v_mov_b32_e32 v130, v129
	v_mov_b32_e32 v131, v9
	;; [unrolled: 1-line block ×3, first 2 shown]
	v_mul_f32_e32 v69, 0.5, v2
	v_pk_add_f32 v[128:129], v[130:131], v[128:129]
	v_pk_add_f32 v[130:131], v[130:131], v[4:5] neg_lo:[0,1] neg_hi:[0,1]
	v_add_f32_e32 v4, v19, v18
	v_mul_f32_e32 v17, 0.5, v4
	v_pk_add_f32 v[138:139], v[70:71], v[68:69]
	v_pk_add_f32 v[68:69], v[70:71], v[68:69] neg_lo:[0,1] neg_hi:[0,1]
	v_mov_b32_e32 v70, v7
	s_mov_b32 s16, s11
	s_mov_b32 s17, s7
	v_mov_b32_e32 v4, v71
	v_pk_add_f32 v[70:71], v[70:71], v[16:17] neg_lo:[0,1] neg_hi:[0,1]
	s_mov_b32 s10, s7
	v_pk_mul_f32 v[132:133], v[78:79], s[16:17]
	v_mul_f32_e32 v97, 0x3f737871, v131
	v_pk_add_f32 v[136:137], v[18:19], v[4:5]
	v_pk_mul_f32 v[144:145], v[70:71], s[10:11]
	v_mov_b32_e32 v129, v131
	v_mov_b32_e32 v2, v133
	v_pk_add_f32 v[134:135], v[20:21], v[18:19] neg_lo:[0,1] neg_hi:[0,1]
	v_pk_add_f32 v[136:137], v[20:21], v[136:137]
	v_pk_add_f32 v[146:147], v[70:71], v[96:97]
	v_fmamk_f32 v130, v131, 0xbf737871, v71
	v_mov_b32_e32 v131, v144
	v_pk_fma_f32 v[132:133], v[78:79], s[16:17], v[2:3] neg_lo:[1,0,0] neg_hi:[1,0,0]
	v_add_f32_e32 v2, v135, v134
	v_mul_f32_e32 v34, 0x3f4f1bbd, v100
	v_pk_add_f32 v[136:137], v[118:119], v[136:137]
	v_pk_fma_f32 v[144:145], v[70:71], v[96:97], v[130:131]
	v_pk_add_f32 v[130:131], v[146:147], v[130:131] neg_lo:[0,1] neg_hi:[0,1]
	v_pk_mul_f32 v[128:129], v[128:129], s[6:7]
	v_mul_f32_e32 v2, 0x3e9e377a, v2
	v_mul_f32_e32 v135, 0x3f167918, v109
	v_mov_b32_e32 v139, v69
	v_mov_b32_e32 v134, v19
	;; [unrolled: 1-line block ×3, first 2 shown]
	v_mul_f32_e32 v143, 0x3f737871, v70
	v_mov_b32_e32 v145, v131
	v_fmac_f32_e32 v69, 0xbf737871, v70
	v_mov_b32_e32 v142, v14
	v_pk_add_f32 v[134:135], v[134:135], v[136:137]
	v_mov_b32_e32 v136, v12
	v_mov_b32_e32 v137, v129
	v_pk_add_f32 v[130:131], v[2:3], v[144:145] op_sel_hi:[0,1]
	v_pk_mul_f32 v[144:145], v[80:81], s[2:3]
	v_sub_f32_e32 v2, v69, v129
	v_pk_add_f32 v[68:69], v[142:143], v[138:139]
	v_mov_b32_e32 v140, v10
	v_mov_b32_e32 v141, v128
	v_pk_fma_f32 v[146:147], v[86:87], s[2:3], v[144:145] op_sel:[0,0,1] op_sel_hi:[1,1,0]
	v_pk_fma_f32 v[144:145], v[86:87], s[2:3], v[144:145] op_sel:[0,0,1] op_sel_hi:[1,1,0] neg_lo:[0,0,1] neg_hi:[0,0,1]
	v_pk_add_f32 v[68:69], v[136:137], v[68:69]
	v_mov_b32_e32 v147, v145
	v_pk_add_f32 v[68:69], v[140:141], v[68:69]
	v_add_u32_e32 v4, 0x1c20, v126
	v_pk_add_f32 v[148:149], v[130:131], v[146:147]
	v_add_f32_e32 v2, v128, v2
	v_pk_add_f32 v[70:71], v[68:69], v[134:135]
	ds_write2_b64 v4, v[70:71], v[148:149] offset1:1
	v_pk_add_f32 v[70:71], v[2:3], v[132:133]
	v_pk_add_f32 v[128:129], v[134:135], v[68:69] neg_lo:[0,1] neg_hi:[0,1]
	v_mov_b32_e32 v68, v69
	v_mov_b32_e32 v69, v130
	;; [unrolled: 1-line block ×4, first 2 shown]
	v_add_u32_e32 v4, 0x1c30, v126
	v_pk_add_f32 v[68:69], v[68:69], v[134:135] neg_lo:[0,1] neg_hi:[0,1]
	v_mov_b32_e32 v71, v128
	ds_write2_b64 v4, v[70:71], v[68:69] offset1:1
	v_mov_b32_e32 v68, v131
	v_mov_b32_e32 v69, v2
	;; [unrolled: 1-line block ×4, first 2 shown]
	v_pk_add_f32 v[68:69], v[68:69], v[70:71] neg_lo:[0,1] neg_hi:[0,1]
	ds_write_b64 v126, v[68:69] offset:7232
.LBB0_17:
	s_or_b64 exec, exec, s[14:15]
	v_add_f32_e32 v2, v57, v61
	v_mov_b32_e32 v4, v63
	v_fmac_f32_e32 v4, -0.5, v2
	v_add_f32_e32 v2, v55, v83
	v_sub_f32_e32 v68, v77, v56
	v_pk_add_f32 v[70:71], v[82:83], v[60:61]
	v_pk_add_f32 v[76:77], v[82:83], v[60:61] neg_lo:[0,1] neg_hi:[0,1]
	v_mul_f32_e32 v10, 0.5, v2
	v_mov_b32_e32 v71, v77
	v_pk_add_f32 v[76:77], v[54:55], v[56:57] neg_lo:[0,1] neg_hi:[0,1]
	v_mov_b32_e32 v82, v55
	v_mov_b32_e32 v55, v10
	;; [unrolled: 1-line block ×3, first 2 shown]
	v_pk_add_f32 v[54:55], v[62:63], v[54:55] neg_lo:[0,1] neg_hi:[0,1]
	v_pk_add_f32 v[60:61], v[60:61], v[82:83] neg_lo:[0,1] neg_hi:[0,1]
	v_mov_b32_e32 v69, v54
	s_mov_b32 s2, s7
	v_add_f32_e32 v2, v60, v61
	v_pk_mul_f32 v[60:61], v[68:69], s[2:3]
	s_mov_b32 s14, s7
	v_sub_f32_e32 v10, v4, v61
	v_add_f32_e32 v4, v61, v4
	v_mul_f32_e32 v97, 0x3f737871, v68
	v_sub_f32_e32 v63, v10, v60
	v_add_f32_e32 v4, v60, v4
	v_pk_mul_f32 v[60:61], v[54:55], s[14:15]
	v_pk_add_f32 v[82:83], v[54:55], v[96:97]
	v_fmamk_f32 v68, v68, 0xbf737871, v55
	v_mov_b32_e32 v69, v60
	v_pk_fma_f32 v[60:61], v[54:55], v[96:97], v[68:69]
	v_pk_add_f32 v[54:55], v[82:83], v[68:69] neg_lo:[0,1] neg_hi:[0,1]
	v_mov_b32_e32 v76, v59
	v_mov_b32_e32 v61, v55
	v_pk_add_f32 v[58:59], v[76:77], v[70:71]
	v_mov_b32_e32 v55, 0x3e9e377a
	v_mov_b32_e32 v54, v53
	v_pk_add_f32 v[52:53], v[54:55], v[58:59]
	v_pk_mul_f32 v[58:59], v[54:55], v[58:59]
	v_mov_b32_e32 v62, v51
	v_mov_b32_e32 v53, v59
	;; [unrolled: 1-line block ×3, first 2 shown]
	v_add_f32_e32 v4, v59, v4
	v_pk_add_f32 v[50:51], v[62:63], v[52:53]
	v_pk_add_f32 v[62:63], v[10:11], v[84:85]
	v_pk_mul_f32 v[58:59], v[84:85], s[10:11]
	s_mov_b32 s10, 0xbf167918
	v_mul_f32_e32 v2, 0x3e9e377a, v2
	s_mov_b32 s16, s3
	s_mov_b32 s17, s6
	v_mov_b32_e32 v63, v59
	v_pk_mul_f32 v[58:59], v[106:107], s[10:11]
	v_pk_add_f32 v[52:53], v[2:3], v[60:61] op_sel_hi:[0,1]
	s_mov_b32 s13, s6
	v_pk_mul_f32 v[56:57], v[92:93], s[16:17]
	v_mov_b32_e32 v2, v59
	v_pk_fma_f32 v[60:61], v[90:91], s[12:13], v[56:57] op_sel:[0,0,1] op_sel_hi:[1,1,0] neg_lo:[0,0,1] neg_hi:[0,0,1]
	v_pk_fma_f32 v[68:69], v[106:107], s[10:11], v[2:3] neg_lo:[0,0,1] neg_hi:[0,0,1]
	v_add_f32_e32 v2, v39, v45
	v_mov_b32_e32 v10, v49
	v_pk_add_f32 v[56:57], v[52:53], v[60:61]
	v_mov_b32_e32 v71, v53
	v_mov_b32_e32 v53, v4
	;; [unrolled: 1-line block ×4, first 2 shown]
	v_fmac_f32_e32 v10, -0.5, v2
	v_add_f32_e32 v2, v47, v75
	v_pk_add_f32 v[58:59], v[52:53], v[58:59] neg_lo:[0,1] neg_hi:[0,1]
	v_sub_f32_e32 v52, v73, v38
	v_pk_add_f32 v[72:73], v[74:75], v[44:45]
	v_pk_add_f32 v[76:77], v[74:75], v[44:45] neg_lo:[0,1] neg_hi:[0,1]
	v_mul_f32_e32 v12, 0.5, v2
	v_mov_b32_e32 v44, v39
	v_mov_b32_e32 v74, v47
	;; [unrolled: 1-line block ×3, first 2 shown]
	v_pk_add_f32 v[76:77], v[46:47], v[38:39] neg_lo:[0,1] neg_hi:[0,1]
	v_pk_add_f32 v[44:45], v[44:45], v[74:75] neg_lo:[0,1] neg_hi:[0,1]
	v_mov_b32_e32 v47, v12
	v_add_f32_e32 v2, v44, v45
	v_pk_add_f32 v[44:45], v[48:49], v[46:47] neg_lo:[0,1] neg_hi:[0,1]
	v_mul_f32_e32 v97, 0x3f737871, v52
	v_mov_b32_e32 v53, v44
	v_pk_mul_f32 v[46:47], v[52:53], s[2:3]
	v_pk_add_f32 v[74:75], v[44:45], v[96:97]
	v_sub_f32_e32 v12, v10, v47
	v_add_f32_e32 v10, v47, v10
	v_sub_f32_e32 v49, v12, v46
	v_add_f32_e32 v10, v46, v10
	v_pk_mul_f32 v[46:47], v[44:45], s[14:15]
	v_fmamk_f32 v52, v52, 0xbf737871, v45
	v_mov_b32_e32 v53, v46
	v_mov_b32_e32 v76, v43
	v_pk_fma_f32 v[44:45], v[44:45], v[96:97], v[52:53]
	v_pk_add_f32 v[46:47], v[74:75], v[52:53] neg_lo:[0,1] neg_hi:[0,1]
	v_pk_add_f32 v[42:43], v[76:77], v[72:73]
	v_mov_b32_e32 v54, v41
	v_mul_f32_e32 v2, 0x3e9e377a, v2
	v_mov_b32_e32 v45, v47
	v_pk_add_f32 v[40:41], v[54:55], v[42:43]
	v_pk_mul_f32 v[42:43], v[54:55], v[42:43]
	v_mov_b32_e32 v12, v39
	v_mov_b32_e32 v41, v43
	v_add_f32_e32 v10, v43, v10
	v_pk_add_f32 v[38:39], v[2:3], v[44:45] op_sel_hi:[0,1]
	v_pk_add_f32 v[42:43], v[12:13], v[98:99]
	v_pk_mul_f32 v[44:45], v[98:99], s[10:11]
	v_mov_b32_e32 v48, v35
	v_mov_b32_e32 v43, v45
	v_pk_mul_f32 v[44:45], v[116:117], s[10:11]
	v_pk_add_f32 v[34:35], v[48:49], v[40:41]
	v_pk_mul_f32 v[40:41], v[104:105], s[16:17]
	v_mov_b32_e32 v2, v45
	v_pk_fma_f32 v[40:41], v[102:103], s[12:13], v[40:41] op_sel:[0,0,1] op_sel_hi:[1,1,0] neg_lo:[0,0,1] neg_hi:[0,0,1]
	v_pk_fma_f32 v[44:45], v[116:117], s[10:11], v[2:3] neg_lo:[0,0,1] neg_hi:[0,0,1]
	v_add_f32_e32 v2, v29, v31
	v_mov_b32_e32 v12, v33
	v_pk_add_f32 v[90:91], v[38:39], v[40:41]
	v_mov_b32_e32 v47, v39
	v_mov_b32_e32 v39, v10
	;; [unrolled: 1-line block ×4, first 2 shown]
	v_fmac_f32_e32 v12, -0.5, v2
	v_add_f32_e32 v2, v37, v67
	v_pk_add_f32 v[92:93], v[38:39], v[48:49] neg_lo:[0,1] neg_hi:[0,1]
	v_pk_add_f32 v[48:49], v[66:67], v[30:31]
	v_pk_add_f32 v[52:53], v[66:67], v[30:31] neg_lo:[0,1] neg_hi:[0,1]
	v_mul_f32_e32 v14, 0.5, v2
	v_mov_b32_e32 v30, v29
	v_mov_b32_e32 v66, v37
	;; [unrolled: 1-line block ×3, first 2 shown]
	v_pk_add_f32 v[52:53], v[36:37], v[28:29] neg_lo:[0,1] neg_hi:[0,1]
	v_pk_add_f32 v[30:31], v[30:31], v[66:67] neg_lo:[0,1] neg_hi:[0,1]
	v_mov_b32_e32 v37, v14
	v_add_f32_e32 v2, v30, v31
	v_pk_add_f32 v[30:31], v[32:33], v[36:37] neg_lo:[0,1] neg_hi:[0,1]
	v_sub_f32_e32 v38, v65, v28
	v_mov_b32_e32 v39, v30
	v_pk_mul_f32 v[32:33], v[38:39], s[2:3]
	v_mul_f32_e32 v97, 0x3f737871, v38
	v_sub_f32_e32 v14, v12, v33
	v_add_f32_e32 v12, v33, v12
	v_sub_f32_e32 v37, v14, v32
	v_add_f32_e32 v12, v32, v12
	v_pk_mul_f32 v[32:33], v[30:31], s[14:15]
	v_pk_add_f32 v[66:67], v[30:31], v[96:97]
	v_fmamk_f32 v38, v38, 0xbf737871, v31
	v_mov_b32_e32 v39, v32
	v_pk_fma_f32 v[30:31], v[30:31], v[96:97], v[38:39]
	v_pk_add_f32 v[32:33], v[66:67], v[38:39] neg_lo:[0,1] neg_hi:[0,1]
	v_mov_b32_e32 v52, v27
	v_mov_b32_e32 v31, v33
	v_pk_add_f32 v[32:33], v[52:53], v[48:49]
	v_mov_b32_e32 v54, v25
	v_pk_add_f32 v[38:39], v[54:55], v[32:33]
	v_pk_mul_f32 v[32:33], v[54:55], v[32:33]
	v_mov_b32_e32 v36, v23
	v_mov_b32_e32 v39, v33
	;; [unrolled: 1-line block ×3, first 2 shown]
	v_add_f32_e32 v12, v33, v12
	v_pk_add_f32 v[32:33], v[36:37], v[38:39]
	v_pk_add_f32 v[36:37], v[14:15], v[88:89]
	v_pk_mul_f32 v[38:39], v[88:89], s[10:11]
	v_mul_f32_e32 v2, 0x3e9e377a, v2
	v_mov_b32_e32 v37, v39
	v_pk_mul_f32 v[38:39], v[120:121], s[10:11]
	v_pk_add_f32 v[28:29], v[2:3], v[30:31] op_sel_hi:[0,1]
	v_pk_mul_f32 v[30:31], v[114:115], s[16:17]
	v_mov_b32_e32 v2, v39
	v_pk_fma_f32 v[30:31], v[112:113], s[12:13], v[30:31] op_sel:[0,0,1] op_sel_hi:[1,1,0] neg_lo:[0,0,1] neg_hi:[0,0,1]
	v_pk_fma_f32 v[38:39], v[120:121], s[10:11], v[2:3] neg_lo:[0,0,1] neg_hi:[0,0,1]
	v_pk_add_f32 v[96:97], v[28:29], v[30:31]
	v_mov_b32_e32 v49, v29
	v_mov_b32_e32 v29, v12
	;; [unrolled: 1-line block ×4, first 2 shown]
	v_mul_f32_e32 v27, 0x3f167918, v95
	v_pk_add_f32 v[102:103], v[28:29], v[52:53] neg_lo:[0,1] neg_hi:[0,1]
	v_pk_add_f32 v[28:29], v[62:63], v[26:27]
	v_pk_fma_f32 v[26:27], v[84:85], s[10:11], v[26:27] neg_lo:[0,0,1] neg_hi:[0,0,1]
	v_mul_f32_e32 v25, 0x3f167918, v101
	v_mov_b32_e32 v26, v28
	v_pk_add_f32 v[104:105], v[50:51], v[26:27]
	v_mov_b32_e32 v60, v27
	v_pk_add_f32 v[26:27], v[42:43], v[24:25]
	v_pk_fma_f32 v[24:25], v[98:99], s[10:11], v[24:25] neg_lo:[0,0,1] neg_hi:[0,0,1]
	v_mul_f32_e32 v23, 0x3f167918, v111
	v_mov_b32_e32 v24, v26
	s_movk_i32 s2, 0xffdc
	v_mov_b32_e32 v70, v51
	v_pk_add_f32 v[106:107], v[4:5], v[68:69]
	v_pk_add_f32 v[98:99], v[34:35], v[24:25]
	v_mov_b32_e32 v40, v25
	v_pk_add_f32 v[24:25], v[36:37], v[22:23]
	v_pk_fma_f32 v[22:23], v[88:89], s[10:11], v[22:23] neg_lo:[0,0,1] neg_hi:[0,0,1]
	v_mad_i32_i24 v68, v122, s2, v126
	v_add_u32_e32 v67, 0xf0, v122
	v_mov_b32_e32 v46, v35
	v_mov_b32_e32 v48, v33
	v_pk_add_f32 v[114:115], v[70:71], v[60:61] neg_lo:[0,1] neg_hi:[0,1]
	v_mov_b32_e32 v22, v24
	v_mov_b32_e32 v30, v23
	v_add_u32_e32 v71, 0x400, v68
	v_add_u32_e32 v60, 0xa00, v68
	;; [unrolled: 1-line block ×5, first 2 shown]
	v_mad_i32_i24 v4, v124, s2, v64
	v_add_u32_e32 v72, 0x600, v68
	v_add_u32_e32 v83, 0xc00, v68
	;; [unrolled: 1-line block ×3, first 2 shown]
	v_lshl_add_u32 v66, v67, 2, 0
	v_add_u32_e32 v74, 0x800, v68
	v_pk_add_f32 v[112:113], v[28:29], v[50:51] neg_lo:[0,1] neg_hi:[0,1]
	v_pk_add_f32 v[116:117], v[10:11], v[44:45]
	v_pk_add_f32 v[120:121], v[26:27], v[34:35] neg_lo:[0,1] neg_hi:[0,1]
	v_pk_add_f32 v[128:129], v[46:47], v[40:41] neg_lo:[0,1] neg_hi:[0,1]
	v_pk_add_f32 v[88:89], v[32:33], v[22:23]
	v_pk_add_f32 v[110:111], v[12:13], v[38:39]
	v_pk_add_f32 v[130:131], v[24:25], v[32:33] neg_lo:[0,1] neg_hi:[0,1]
	v_pk_add_f32 v[132:133], v[48:49], v[30:31] neg_lo:[0,1] neg_hi:[0,1]
	s_waitcnt lgkmcnt(0)
	; wave barrier
	s_waitcnt lgkmcnt(0)
	ds_read2_b32 v[22:23], v68 offset1:180
	ds_read2_b32 v[52:53], v71 offset0:104 offset1:164
	ds_read2_b32 v[50:51], v60 offset0:80 offset1:140
	;; [unrolled: 1-line block ×5, first 2 shown]
	ds_read_b32 v12, v4
	ds_read2_b32 v[42:43], v72 offset0:96 offset1:156
	ds_read2_b32 v[40:41], v83 offset0:72 offset1:132
	;; [unrolled: 1-line block ×5, first 2 shown]
	ds_read_b32 v10, v66
	ds_read2_b32 v[32:33], v74 offset0:88 offset1:148
	ds_read2_b32 v[30:31], v83 offset0:192 offset1:252
	;; [unrolled: 1-line block ×4, first 2 shown]
	v_mad_i32_i24 v2, v125, s2, v94
	v_add_u32_e32 v70, 0x12c, v122
	v_add_u32_e32 v84, 0x1e00, v68
	ds_read2_b32 v[24:25], v84 offset0:120 offset1:180
	v_lshl_add_u32 v69, v70, 2, 0
	ds_read_b32 v14, v2
	ds_read_b32 v4, v69
	v_mov_b32_e32 v134, v57
	v_mov_b32_e32 v135, v56
	;; [unrolled: 1-line block ×5, first 2 shown]
	v_add_u32_e32 v76, 0xb4, v122
	v_mul_i32_i24_e32 v61, 0xffffffdc, v125
	v_mul_i32_i24_e32 v62, 0xffffffdc, v124
	s_movk_i32 s6, 0xf0
	s_waitcnt lgkmcnt(0)
	; wave barrier
	s_waitcnt lgkmcnt(0)
	ds_write2_b64 v126, v[104:105], v[134:135] offset1:1
	ds_write2_b64 v126, v[106:107], v[114:115] offset0:2 offset1:3
	ds_write_b64 v126, v[58:59] offset:32
	ds_write2_b64 v94, v[98:99], v[56:57] offset1:1
	v_mov_b32_e32 v117, v120
	v_mov_b32_e32 v56, v97
	;; [unrolled: 1-line block ×4, first 2 shown]
	ds_write2_b64 v94, v[116:117], v[128:129] offset0:2 offset1:3
	ds_write_b64 v94, v[92:93] offset:32
	ds_write2_b64 v64, v[88:89], v[56:57] offset1:1
	ds_write2_b64 v64, v[110:111], v[132:133] offset0:2 offset1:3
	ds_write_b64 v64, v[102:103] offset:32
	s_and_saveexec_b64 s[2:3], s[0:1]
	s_cbranch_execz .LBB0_19
; %bb.18:
	v_add_f32_e32 v2, v5, v9
	v_pk_add_f32 v[56:57], v[6:7], v[8:9]
	v_pk_add_f32 v[58:59], v[6:7], v[8:9] neg_lo:[0,1] neg_hi:[0,1]
	v_mov_b32_e32 v8, v5
	v_mov_b32_e32 v17, v7
	v_fma_f32 v54, -0.5, v2, v3
	v_add_f32_e32 v2, v16, v7
	v_pk_add_f32 v[6:7], v[8:9], v[16:17] neg_lo:[0,1] neg_hi:[0,1]
	v_mul_f32_e32 v89, 0.5, v2
	v_add_f32_e32 v2, v6, v7
	v_mul_f32_e32 v6, 0x3e9e377a, v2
	v_mov_b32_e32 v2, v18
	v_mov_b32_e32 v88, v19
	v_pk_add_f32 v[20:21], v[20:21], v[118:119] neg_lo:[0,1] neg_hi:[0,1]
	s_mov_b32 s0, 0x3f167918
	v_pk_add_f32 v[2:3], v[2:3], v[88:89] neg_lo:[0,1] neg_hi:[0,1]
	s_mov_b32 s1, 0x3f737871
	v_mov_b32_e32 v21, v2
	v_pk_mul_f32 v[8:9], v[20:21], s[0:1]
	v_mul_f32_e32 v91, 0x3f737871, v20
	v_sub_f32_e32 v7, v54, v9
	v_sub_f32_e32 v19, v7, v8
	v_add_f32_e32 v7, v9, v54
	v_add_f32_e32 v7, v8, v7
	v_mov_b32_e32 v90, 0x3f167918
	v_pk_mul_f32 v[8:9], v[2:3], s[0:1]
	v_pk_add_f32 v[88:89], v[2:3], v[90:91]
	v_fmamk_f32 v20, v20, 0xbf737871, v3
	v_mov_b32_e32 v21, v8
	v_mov_b32_e32 v57, v59
	v_sub_f32_e32 v59, v16, v5
	v_pk_fma_f32 v[2:3], v[2:3], v[90:91], v[20:21]
	v_pk_add_f32 v[8:9], v[88:89], v[20:21] neg_lo:[0,1] neg_hi:[0,1]
	v_mov_b32_e32 v58, v15
	v_mov_b32_e32 v3, v9
	v_pk_add_f32 v[8:9], v[58:59], v[56:57]
	v_mov_b32_e32 v54, v13
	v_pk_add_f32 v[20:21], v[54:55], v[8:9]
	v_pk_mul_f32 v[8:9], v[54:55], v[8:9]
	s_mov_b32 s12, 0xbf737871
	v_mov_b32_e32 v21, v9
	v_mov_b32_e32 v18, v11
	s_mov_b32 s13, 0x3e9e377a
	v_pk_add_f32 v[18:19], v[18:19], v[20:21]
	v_mov_b32_e32 v21, 0x3f4f1bbd
	v_mov_b32_e32 v20, v5
	v_add_f32_e32 v8, v9, v7
	s_mov_b32 s7, 0x3f4f1bbd
	v_pk_add_f32 v[2:3], v[6:7], v[2:3] op_sel_hi:[0,1]
	v_mul_f32_e32 v17, 0x3f167918, v100
	v_pk_add_f32 v[6:7], v[20:21], v[108:109]
	s_mov_b32 s0, s1
	s_mov_b32 s1, s13
	v_pk_add_f32 v[6:7], v[6:7], v[16:17]
	v_pk_fma_f32 v[16:17], v[108:109], s[6:7], v[16:17] neg_lo:[0,0,1] neg_hi:[0,0,1]
	v_pk_mul_f32 v[54:55], v[86:87], s[0:1]
	v_mul_f32_e32 v5, 0x3f4f1bbd, v79
	v_mov_b32_e32 v7, v17
	v_pk_fma_f32 v[54:55], v[80:81], s[12:13], v[54:55] op_sel:[0,0,1] op_sel_hi:[1,1,0] neg_lo:[0,0,1] neg_hi:[0,0,1]
	v_fma_f32 v58, v78, s10, -v5
	v_mov_b32_e32 v9, v6
	v_mov_b32_e32 v59, v18
	v_pk_add_f32 v[20:21], v[18:19], v[6:7]
	v_pk_add_f32 v[56:57], v[2:3], v[54:55]
	;; [unrolled: 1-line block ×3, first 2 shown]
	v_pk_add_f32 v[78:79], v[8:9], v[58:59] neg_lo:[0,1] neg_hi:[0,1]
	v_mov_b32_e32 v18, v19
	v_mov_b32_e32 v19, v3
	;; [unrolled: 1-line block ×4, first 2 shown]
	v_pk_add_f32 v[16:17], v[18:19], v[16:17] neg_lo:[0,1] neg_hi:[0,1]
	v_mov_b32_e32 v3, v8
	v_mov_b32_e32 v55, v58
	v_mad_u32_u24 v5, v76, 40, 0
	v_mov_b32_e32 v8, v57
	v_mov_b32_e32 v9, v56
	;; [unrolled: 1-line block ×3, first 2 shown]
	v_pk_add_f32 v[2:3], v[2:3], v[54:55] neg_lo:[0,1] neg_hi:[0,1]
	ds_write2_b64 v5, v[20:21], v[8:9] offset1:1
	ds_write2_b64 v5, v[6:7], v[16:17] offset0:2 offset1:3
	ds_write_b64 v5, v[2:3] offset:32
.LBB0_19:
	s_or_b64 exec, exec, s[2:3]
	s_movk_i32 s0, 0xcd
	v_mul_lo_u16_sdwa v2, v122, s0 dst_sel:DWORD dst_unused:UNUSED_PAD src0_sel:BYTE_0 src1_sel:DWORD
	v_lshrrev_b16_e32 v5, 11, v2
	v_mul_lo_u16_e32 v2, 10, v5
	v_sub_u16_e32 v6, v122, v2
	v_mov_b32_e32 v13, 5
	v_mul_u32_u24_sdwa v2, v6, v13 dst_sel:DWORD dst_unused:UNUSED_PAD src0_sel:BYTE_0 src1_sel:DWORD
	v_lshlrev_b32_e32 v2, 3, v2
	s_waitcnt lgkmcnt(0)
	; wave barrier
	s_waitcnt lgkmcnt(0)
	global_load_dwordx4 v[56:59], v2, s[4:5]
	global_load_dwordx4 v[86:89], v2, s[4:5] offset:16
	global_load_dwordx2 v[20:21], v2, s[4:5] offset:32
	v_mul_lo_u16_sdwa v2, v125, s0 dst_sel:DWORD dst_unused:UNUSED_PAD src0_sel:BYTE_0 src1_sel:DWORD
	v_lshrrev_b16_e32 v7, 11, v2
	v_mul_lo_u16_e32 v2, 10, v7
	v_sub_u16_e32 v8, v125, v2
	v_mul_u32_u24_sdwa v2, v8, v13 dst_sel:DWORD dst_unused:UNUSED_PAD src0_sel:BYTE_0 src1_sel:DWORD
	v_lshlrev_b32_e32 v9, 3, v2
	global_load_dwordx4 v[90:93], v9, s[4:5]
	ds_read2_b32 v[2:3], v68 offset1:180
	ds_read2_b32 v[80:81], v71 offset0:104 offset1:164
	ds_read2_b32 v[120:121], v60 offset0:80 offset1:140
	;; [unrolled: 1-line block ×5, first 2 shown]
	global_load_dwordx2 v[132:133], v9, s[4:5] offset:32
	global_load_dwordx4 v[96:99], v9, s[4:5] offset:16
	v_mul_lo_u16_sdwa v9, v124, s0 dst_sel:DWORD dst_unused:UNUSED_PAD src0_sel:BYTE_0 src1_sel:DWORD
	v_lshrrev_b16_e32 v9, 11, v9
	v_mul_lo_u16_e32 v11, 10, v9
	v_sub_u16_e32 v11, v124, v11
	v_mul_u32_u24_sdwa v15, v11, v13 dst_sel:DWORD dst_unused:UNUSED_PAD src0_sel:BYTE_0 src1_sel:DWORD
	v_lshlrev_b32_e32 v16, 3, v15
	v_mul_lo_u16_sdwa v15, v76, s0 dst_sel:DWORD dst_unused:UNUSED_PAD src0_sel:BYTE_0 src1_sel:DWORD
	v_lshrrev_b16_e32 v15, 11, v15
	v_mul_lo_u16_e32 v17, 10, v15
	v_sub_u16_e32 v17, v76, v17
	s_mov_b32 s1, 0xcccd
	v_mul_u32_u24_sdwa v13, v17, v13 dst_sel:DWORD dst_unused:UNUSED_PAD src0_sel:BYTE_0 src1_sel:DWORD
	v_add_u32_e32 v78, v64, v62
	v_mul_u32_u24_sdwa v79, v67, s1 dst_sel:DWORD dst_unused:UNUSED_PAD src0_sel:WORD_0 src1_sel:DWORD
	v_lshlrev_b32_e32 v85, 3, v13
	v_add_u32_e32 v55, v94, v61
	ds_read2_b32 v[94:95], v72 offset0:96 offset1:156
	ds_read2_b32 v[134:135], v83 offset0:72 offset1:132
	;; [unrolled: 1-line block ×4, first 2 shown]
	global_load_dwordx4 v[62:65], v16, s[4:5] offset:16
	global_load_dwordx4 v[100:103], v16, s[4:5]
	ds_read2_b32 v[140:141], v77 offset0:128 offset1:188
	ds_read_b32 v18, v66
	ds_read2_b32 v[142:143], v74 offset0:88 offset1:148
	ds_read2_b32 v[144:145], v83 offset0:192 offset1:252
	;; [unrolled: 1-line block ×5, first 2 shown]
	ds_read_b32 v54, v78
	ds_read_b32 v61, v55
	;; [unrolled: 1-line block ×3, first 2 shown]
	global_load_dwordx2 v[152:153], v16, s[4:5] offset:32
	global_load_dwordx4 v[104:107], v85, s[4:5]
	v_lshrrev_b32_e32 v16, 19, v79
	v_mul_lo_u16_e32 v13, 10, v16
	v_sub_u16_e32 v13, v67, v13
	v_mul_u32_u24_e32 v79, 5, v13
	v_lshlrev_b32_e32 v79, 3, v79
	global_load_dwordx2 v[154:155], v85, s[4:5] offset:32
	global_load_dwordx4 v[108:111], v85, s[4:5] offset:16
	global_load_dwordx4 v[112:115], v79, s[4:5] offset:16
	global_load_dwordx4 v[116:119], v79, s[4:5]
	v_mul_u32_u24_e32 v5, 0xf0, v5
	s_mov_b32 s0, 0x5040100
	s_movk_i32 s2, 0x89
	s_waitcnt vmcnt(13) lgkmcnt(14)
	v_mul_f32_e32 v85, v80, v57
	v_mul_f32_e32 v156, v52, v57
	;; [unrolled: 1-line block ×4, first 2 shown]
	s_waitcnt vmcnt(12)
	v_mul_f32_e32 v59, v126, v87
	v_mul_f32_e32 v87, v48, v87
	s_waitcnt vmcnt(11)
	v_mul_f32_e32 v159, v130, v21
	v_fma_f32 v48, v48, v86, -v59
	v_fmac_f32_e32 v87, v126, v86
	v_fma_f32 v86, v44, v20, -v159
	v_mul_f32_e32 v44, v44, v21
	v_mul_f32_e32 v158, v128, v89
	;; [unrolled: 1-line block ×3, first 2 shown]
	v_fmac_f32_e32 v44, v130, v20
	s_waitcnt vmcnt(10)
	v_mul_f32_e32 v20, v81, v91
	v_fma_f32 v46, v46, v88, -v158
	v_fmac_f32_e32 v89, v128, v88
	v_fma_f32 v88, v53, v90, -v20
	v_mul_u32_u24_sdwa v20, v70, s1 dst_sel:DWORD dst_unused:UNUSED_PAD src0_sel:WORD_0 src1_sel:DWORD
	v_fmac_f32_e32 v157, v120, v58
	v_lshrrev_b32_e32 v120, 19, v20
	v_fma_f32 v160, v50, v58, -v57
	v_mul_lo_u16_e32 v50, 10, v120
	global_load_dwordx2 v[20:21], v79, s[4:5] offset:32
	v_sub_u16_e32 v79, v70, v50
	v_mul_u32_u24_e32 v50, 5, v79
	v_lshlrev_b32_e32 v50, 3, v50
	v_fma_f32 v85, v52, v56, -v85
	v_fmac_f32_e32 v156, v80, v56
	v_mul_f32_e32 v91, v53, v91
	global_load_dwordx4 v[56:59], v50, s[4:5]
	v_mul_f32_e32 v52, v121, v93
	v_fmac_f32_e32 v91, v81, v90
	v_fma_f32 v90, v51, v92, -v52
	v_mul_f32_e32 v93, v51, v93
	global_load_dwordx2 v[80:81], v50, s[4:5] offset:32
	s_nop 0
	global_load_dwordx4 v[50:53], v50, s[4:5] offset:16
	v_fmac_f32_e32 v93, v121, v92
	s_waitcnt vmcnt(12)
	v_mul_f32_e32 v92, v127, v97
	v_fma_f32 v92, v49, v96, -v92
	v_mul_f32_e32 v49, v49, v97
	v_fmac_f32_e32 v49, v127, v96
	v_mul_f32_e32 v96, v129, v99
	v_fma_f32 v96, v47, v98, -v96
	v_mul_f32_e32 v47, v47, v99
	s_waitcnt vmcnt(11) lgkmcnt(11)
	v_mul_f32_e32 v99, v136, v63
	v_fma_f32 v99, v38, v62, -v99
	v_mul_f32_e32 v38, v38, v63
	v_fmac_f32_e32 v38, v136, v62
	s_waitcnt lgkmcnt(10)
	v_mul_f32_e32 v62, v138, v65
	v_fma_f32 v62, v36, v64, -v62
	v_mul_f32_e32 v36, v36, v65
	s_waitcnt vmcnt(8)
	v_mul_f32_e32 v65, v135, v107
	v_fma_f32 v65, v41, v106, -v65
	v_mul_f32_e32 v41, v41, v107
	v_fmac_f32_e32 v41, v135, v106
	v_fmac_f32_e32 v36, v138, v64
	v_mul_f32_e32 v64, v95, v105
	v_fma_f32 v64, v43, v104, -v64
	v_mul_f32_e32 v43, v43, v105
	v_fmac_f32_e32 v43, v95, v104
	s_waitcnt vmcnt(6)
	v_mul_f32_e32 v95, v137, v109
	v_fma_f32 v95, v39, v108, -v95
	v_mul_f32_e32 v39, v39, v109
	v_fmac_f32_e32 v39, v137, v108
	v_fmac_f32_e32 v47, v129, v98
	v_mul_f32_e32 v97, v131, v133
	v_fma_f32 v97, v45, v132, -v97
	v_mul_f32_e32 v45, v45, v133
	v_fmac_f32_e32 v45, v131, v132
	v_mul_f32_e32 v98, v94, v101
	v_fma_f32 v98, v42, v100, -v98
	v_mul_f32_e32 v42, v42, v101
	;; [unrolled: 4-line block ×3, first 2 shown]
	v_fmac_f32_e32 v40, v134, v102
	s_waitcnt lgkmcnt(9)
	v_mul_f32_e32 v63, v140, v153
	v_fma_f32 v63, v34, v152, -v63
	v_mul_f32_e32 v34, v34, v153
	v_fmac_f32_e32 v34, v140, v152
	v_mul_f32_e32 v100, v139, v111
	v_fma_f32 v100, v37, v110, -v100
	v_mul_f32_e32 v37, v37, v111
	v_fmac_f32_e32 v37, v139, v110
	;; [unrolled: 4-line block ×3, first 2 shown]
	s_waitcnt vmcnt(4) lgkmcnt(6)
	v_mul_f32_e32 v103, v144, v119
	s_waitcnt lgkmcnt(4)
	v_mul_f32_e32 v105, v148, v115
	v_fma_f32 v103, v30, v118, -v103
	v_mul_f32_e32 v30, v30, v119
	v_fma_f32 v105, v26, v114, -v105
	v_mul_f32_e32 v26, v26, v115
	v_fmac_f32_e32 v30, v144, v118
	v_fmac_f32_e32 v26, v148, v114
	v_mul_f32_e32 v104, v146, v113
	v_mul_f32_e32 v102, v142, v117
	v_fma_f32 v104, v28, v112, -v104
	v_mul_f32_e32 v28, v28, v113
	v_fma_f32 v102, v32, v116, -v102
	v_mul_f32_e32 v32, v32, v117
	s_waitcnt vmcnt(3) lgkmcnt(3)
	v_mul_f32_e32 v106, v150, v21
	v_mul_f32_e32 v21, v24, v21
	v_fma_f32 v106, v24, v20, -v106
	v_fmac_f32_e32 v21, v150, v20
	v_fmac_f32_e32 v28, v146, v112
	;; [unrolled: 1-line block ×3, first 2 shown]
	s_waitcnt vmcnt(2) lgkmcnt(0)
	v_mul_f32_e32 v20, v143, v57
	v_mul_f32_e32 v24, v33, v57
	v_fma_f32 v20, v33, v56, -v20
	v_fmac_f32_e32 v24, v143, v56
	v_mul_f32_e32 v33, v145, v59
	s_waitcnt vmcnt(0)
	v_mul_f32_e32 v56, v147, v51
	v_fma_f32 v56, v29, v50, -v56
	v_mul_f32_e32 v29, v29, v51
	v_fmac_f32_e32 v29, v147, v50
	v_mul_f32_e32 v50, v149, v53
	v_fma_f32 v33, v31, v58, -v33
	v_mul_f32_e32 v31, v31, v59
	v_fma_f32 v50, v27, v52, -v50
	v_mul_f32_e32 v27, v27, v53
	v_add_f32_e32 v53, v160, v46
	v_fmac_f32_e32 v31, v145, v58
	v_fmac_f32_e32 v27, v149, v52
	v_add_f32_e32 v52, v22, v160
	v_fma_f32 v22, -0.5, v53, v22
	v_sub_f32_e32 v53, v157, v89
	v_add_f32_e32 v58, v157, v89
	v_mul_f32_e32 v51, v151, v81
	v_add_f32_e32 v52, v52, v46
	v_fmamk_f32 v57, v53, 0x3f5db3d7, v22
	v_fmac_f32_e32 v22, 0xbf5db3d7, v53
	v_add_f32_e32 v53, v2, v157
	v_fma_f32 v2, -0.5, v58, v2
	v_sub_f32_e32 v46, v160, v46
	v_add_f32_e32 v59, v48, v86
	v_fma_f32 v51, v25, v80, -v51
	v_mul_f32_e32 v25, v25, v81
	v_fmamk_f32 v58, v46, 0xbf5db3d7, v2
	v_fmac_f32_e32 v2, 0x3f5db3d7, v46
	v_add_f32_e32 v46, v85, v48
	v_fmac_f32_e32 v85, -0.5, v59
	v_sub_f32_e32 v59, v87, v44
	v_fmac_f32_e32 v25, v151, v80
	v_fmamk_f32 v80, v59, 0x3f5db3d7, v85
	v_fmac_f32_e32 v85, 0xbf5db3d7, v59
	v_add_f32_e32 v59, v156, v87
	v_add_f32_e32 v59, v59, v44
	;; [unrolled: 1-line block ×3, first 2 shown]
	v_fmac_f32_e32 v156, -0.5, v44
	v_sub_f32_e32 v44, v48, v86
	v_fmamk_f32 v48, v44, 0xbf5db3d7, v156
	v_fmac_f32_e32 v156, 0x3f5db3d7, v44
	v_mul_f32_e32 v81, 0x3f5db3d7, v48
	v_add_f32_e32 v53, v53, v89
	v_add_f32_e32 v46, v46, v86
	v_fmac_f32_e32 v81, 0.5, v80
	v_mul_f32_e32 v108, -0.5, v156
	v_add_f32_e32 v44, v52, v46
	v_add_f32_e32 v86, v57, v81
	;; [unrolled: 1-line block ×3, first 2 shown]
	v_mul_f32_e32 v80, 0xbf5db3d7, v80
	v_fmac_f32_e32 v108, 0xbf5db3d7, v85
	v_sub_f32_e32 v46, v52, v46
	v_sub_f32_e32 v52, v57, v81
	;; [unrolled: 1-line block ×3, first 2 shown]
	v_add_f32_e32 v53, v90, v96
	v_mul_f32_e32 v87, -0.5, v85
	v_fmac_f32_e32 v80, 0.5, v48
	v_add_f32_e32 v85, v2, v108
	v_sub_f32_e32 v59, v2, v108
	v_add_f32_e32 v2, v14, v90
	v_fmac_f32_e32 v14, -0.5, v53
	v_sub_f32_e32 v53, v93, v47
	v_add_f32_e32 v48, v58, v80
	v_sub_f32_e32 v58, v58, v80
	v_fmamk_f32 v80, v53, 0x3f5db3d7, v14
	v_fmac_f32_e32 v14, 0xbf5db3d7, v53
	v_add_f32_e32 v53, v61, v93
	v_fmac_f32_e32 v87, 0x3f5db3d7, v156
	v_add_f32_e32 v53, v53, v47
	v_add_f32_e32 v47, v93, v47
	;; [unrolled: 1-line block ×3, first 2 shown]
	v_sub_f32_e32 v22, v22, v87
	v_fmac_f32_e32 v61, -0.5, v47
	v_sub_f32_e32 v47, v90, v96
	v_add_f32_e32 v87, v92, v97
	v_fmamk_f32 v81, v47, 0xbf5db3d7, v61
	v_fmac_f32_e32 v61, 0x3f5db3d7, v47
	v_add_f32_e32 v47, v88, v92
	v_fmac_f32_e32 v88, -0.5, v87
	v_sub_f32_e32 v87, v49, v45
	v_fmamk_f32 v90, v87, 0x3f5db3d7, v88
	v_fmac_f32_e32 v88, 0xbf5db3d7, v87
	v_add_f32_e32 v87, v91, v49
	v_add_f32_e32 v87, v87, v45
	;; [unrolled: 1-line block ×3, first 2 shown]
	v_fmac_f32_e32 v91, -0.5, v45
	v_sub_f32_e32 v45, v92, v97
	v_fmamk_f32 v49, v45, 0xbf5db3d7, v91
	v_mul_f32_e32 v92, 0x3f5db3d7, v49
	v_add_f32_e32 v2, v2, v96
	v_add_f32_e32 v47, v47, v97
	v_fmac_f32_e32 v92, 0.5, v90
	v_fmac_f32_e32 v91, 0x3f5db3d7, v45
	v_add_f32_e32 v45, v2, v47
	v_add_f32_e32 v93, v80, v92
	;; [unrolled: 1-line block ×3, first 2 shown]
	v_mul_f32_e32 v90, 0xbf5db3d7, v90
	v_sub_f32_e32 v2, v2, v47
	v_sub_f32_e32 v47, v80, v92
	;; [unrolled: 1-line block ×3, first 2 shown]
	v_add_f32_e32 v87, v94, v62
	v_fmac_f32_e32 v90, 0.5, v49
	v_add_f32_e32 v53, v12, v94
	v_fmac_f32_e32 v12, -0.5, v87
	v_sub_f32_e32 v87, v40, v36
	v_add_f32_e32 v49, v81, v90
	v_sub_f32_e32 v81, v81, v90
	v_fmamk_f32 v90, v87, 0x3f5db3d7, v12
	v_fmac_f32_e32 v12, 0xbf5db3d7, v87
	v_add_f32_e32 v87, v54, v40
	v_mul_f32_e32 v96, -0.5, v88
	v_add_f32_e32 v87, v87, v36
	v_add_f32_e32 v36, v40, v36
	v_fmac_f32_e32 v96, 0x3f5db3d7, v91
	v_mul_f32_e32 v91, -0.5, v91
	v_add_f32_e32 v53, v53, v62
	v_fmac_f32_e32 v54, -0.5, v36
	v_sub_f32_e32 v36, v94, v62
	v_add_f32_e32 v62, v99, v63
	v_fmac_f32_e32 v91, 0xbf5db3d7, v88
	v_fmamk_f32 v40, v36, 0xbf5db3d7, v54
	v_fmac_f32_e32 v54, 0x3f5db3d7, v36
	v_add_f32_e32 v36, v98, v99
	v_fmac_f32_e32 v98, -0.5, v62
	v_sub_f32_e32 v62, v38, v34
	v_add_f32_e32 v88, v61, v91
	v_sub_f32_e32 v61, v61, v91
	v_fmamk_f32 v91, v62, 0x3f5db3d7, v98
	v_fmac_f32_e32 v98, 0xbf5db3d7, v62
	v_add_f32_e32 v62, v42, v38
	v_add_f32_e32 v62, v62, v34
	;; [unrolled: 1-line block ×3, first 2 shown]
	v_fmac_f32_e32 v42, -0.5, v34
	v_sub_f32_e32 v34, v99, v63
	v_fmamk_f32 v38, v34, 0xbf5db3d7, v42
	v_add_f32_e32 v36, v36, v63
	v_mul_f32_e32 v63, 0x3f5db3d7, v38
	v_fmac_f32_e32 v42, 0x3f5db3d7, v34
	v_fmac_f32_e32 v63, 0.5, v91
	v_mul_f32_e32 v91, 0xbf5db3d7, v91
	v_fmac_f32_e32 v91, 0.5, v38
	v_mul_f32_e32 v38, -0.5, v42
	v_add_f32_e32 v34, v53, v36
	v_fmac_f32_e32 v38, 0xbf5db3d7, v98
	v_sub_f32_e32 v36, v53, v36
	v_add_f32_e32 v53, v65, v100
	v_mul_f32_e32 v94, -0.5, v98
	v_add_f32_e32 v98, v54, v38
	v_sub_f32_e32 v54, v54, v38
	v_add_f32_e32 v38, v23, v65
	v_fmac_f32_e32 v23, -0.5, v53
	v_sub_f32_e32 v53, v41, v37
	v_add_f32_e32 v92, v90, v63
	v_fmac_f32_e32 v94, 0x3f5db3d7, v42
	v_sub_f32_e32 v42, v90, v63
	v_fmamk_f32 v63, v53, 0x3f5db3d7, v23
	v_fmac_f32_e32 v23, 0xbf5db3d7, v53
	v_add_f32_e32 v53, v3, v41
	v_add_f32_e32 v53, v53, v37
	;; [unrolled: 1-line block ×3, first 2 shown]
	v_fmac_f32_e32 v3, -0.5, v37
	v_sub_f32_e32 v37, v65, v100
	v_add_f32_e32 v65, v95, v101
	v_fmamk_f32 v41, v37, 0xbf5db3d7, v3
	v_fmac_f32_e32 v3, 0x3f5db3d7, v37
	v_add_f32_e32 v37, v64, v95
	v_fmac_f32_e32 v64, -0.5, v65
	v_sub_f32_e32 v65, v39, v35
	v_add_f32_e32 v99, v87, v62
	v_sub_f32_e32 v62, v87, v62
	v_fmamk_f32 v87, v65, 0x3f5db3d7, v64
	v_fmac_f32_e32 v64, 0xbf5db3d7, v65
	v_add_f32_e32 v65, v43, v39
	v_add_f32_e32 v65, v65, v35
	;; [unrolled: 1-line block ×3, first 2 shown]
	v_fmac_f32_e32 v43, -0.5, v35
	v_sub_f32_e32 v35, v95, v101
	v_fmamk_f32 v39, v35, 0xbf5db3d7, v43
	v_add_f32_e32 v97, v14, v96
	v_sub_f32_e32 v14, v14, v96
	v_add_f32_e32 v96, v12, v94
	v_sub_f32_e32 v12, v12, v94
	v_fmac_f32_e32 v43, 0x3f5db3d7, v35
	v_mul_f32_e32 v90, 0x3f5db3d7, v39
	v_mul_f32_e32 v94, -0.5, v64
	v_add_f32_e32 v38, v38, v100
	v_add_f32_e32 v37, v37, v101
	v_fmac_f32_e32 v90, 0.5, v87
	v_fmac_f32_e32 v94, 0x3f5db3d7, v43
	v_mul_f32_e32 v43, -0.5, v43
	v_add_f32_e32 v109, v40, v91
	v_sub_f32_e32 v40, v40, v91
	v_add_f32_e32 v35, v38, v37
	v_add_f32_e32 v91, v63, v90
	;; [unrolled: 1-line block ×3, first 2 shown]
	v_fmac_f32_e32 v43, 0xbf5db3d7, v64
	v_sub_f32_e32 v37, v38, v37
	v_sub_f32_e32 v38, v63, v90
	;; [unrolled: 1-line block ×3, first 2 shown]
	v_add_f32_e32 v53, v103, v105
	v_add_f32_e32 v64, v3, v43
	v_sub_f32_e32 v43, v3, v43
	v_add_f32_e32 v3, v10, v103
	v_fmac_f32_e32 v10, -0.5, v53
	v_sub_f32_e32 v53, v30, v26
	v_mul_f32_e32 v87, 0xbf5db3d7, v87
	v_fmamk_f32 v65, v53, 0x3f5db3d7, v10
	v_fmac_f32_e32 v10, 0xbf5db3d7, v53
	v_add_f32_e32 v53, v18, v30
	v_fmac_f32_e32 v87, 0.5, v39
	v_add_f32_e32 v53, v53, v26
	v_add_f32_e32 v26, v30, v26
	;; [unrolled: 1-line block ×3, first 2 shown]
	v_sub_f32_e32 v41, v41, v87
	v_fmac_f32_e32 v18, -0.5, v26
	v_sub_f32_e32 v26, v103, v105
	v_add_f32_e32 v87, v104, v106
	v_fmamk_f32 v30, v26, 0xbf5db3d7, v18
	v_fmac_f32_e32 v18, 0x3f5db3d7, v26
	v_add_f32_e32 v26, v102, v104
	v_fmac_f32_e32 v102, -0.5, v87
	v_sub_f32_e32 v87, v28, v21
	v_fmamk_f32 v90, v87, 0x3f5db3d7, v102
	v_fmac_f32_e32 v102, 0xbf5db3d7, v87
	v_add_f32_e32 v87, v32, v28
	v_add_f32_e32 v87, v87, v21
	v_add_f32_e32 v21, v28, v21
	v_fmac_f32_e32 v32, -0.5, v21
	v_sub_f32_e32 v21, v104, v106
	v_fmamk_f32 v28, v21, 0xbf5db3d7, v32
	v_add_f32_e32 v95, v23, v94
	v_sub_f32_e32 v23, v23, v94
	v_mul_f32_e32 v94, 0x3f5db3d7, v28
	v_fmac_f32_e32 v32, 0x3f5db3d7, v21
	v_fmac_f32_e32 v94, 0.5, v90
	v_mul_f32_e32 v103, -0.5, v102
	v_mul_f32_e32 v90, 0xbf5db3d7, v90
	v_add_f32_e32 v3, v3, v105
	v_add_f32_e32 v26, v26, v106
	v_fmac_f32_e32 v103, 0x3f5db3d7, v32
	v_fmac_f32_e32 v90, 0.5, v28
	v_mul_f32_e32 v32, -0.5, v32
	v_add_f32_e32 v21, v3, v26
	v_add_f32_e32 v101, v65, v94
	;; [unrolled: 1-line block ×4, first 2 shown]
	v_fmac_f32_e32 v32, 0xbf5db3d7, v102
	v_sub_f32_e32 v3, v3, v26
	v_sub_f32_e32 v26, v65, v94
	;; [unrolled: 1-line block ×4, first 2 shown]
	v_add_f32_e32 v30, v33, v50
	v_add_f32_e32 v102, v18, v32
	v_sub_f32_e32 v90, v18, v32
	v_add_f32_e32 v18, v4, v33
	v_fmac_f32_e32 v4, -0.5, v30
	v_sub_f32_e32 v30, v31, v27
	v_fmamk_f32 v32, v30, 0x3f5db3d7, v4
	v_fmac_f32_e32 v4, 0xbf5db3d7, v30
	v_add_f32_e32 v30, v19, v31
	v_add_f32_e32 v30, v30, v27
	;; [unrolled: 1-line block ×3, first 2 shown]
	v_fmac_f32_e32 v19, -0.5, v27
	v_sub_f32_e32 v27, v33, v50
	v_add_f32_e32 v33, v56, v51
	v_fmamk_f32 v31, v27, 0xbf5db3d7, v19
	v_fmac_f32_e32 v19, 0x3f5db3d7, v27
	v_add_f32_e32 v27, v20, v56
	v_fmac_f32_e32 v20, -0.5, v33
	v_sub_f32_e32 v33, v29, v25
	v_add_f32_e32 v18, v18, v50
	v_fmamk_f32 v50, v33, 0x3f5db3d7, v20
	v_fmac_f32_e32 v20, 0xbf5db3d7, v33
	v_add_f32_e32 v33, v24, v29
	v_add_f32_e32 v33, v33, v25
	;; [unrolled: 1-line block ×3, first 2 shown]
	v_fmac_f32_e32 v24, -0.5, v25
	v_sub_f32_e32 v25, v56, v51
	v_fmamk_f32 v29, v25, 0xbf5db3d7, v24
	v_fmac_f32_e32 v24, 0x3f5db3d7, v25
	v_mul_f32_e32 v56, -0.5, v20
	v_fmac_f32_e32 v56, 0x3f5db3d7, v24
	v_mul_f32_e32 v24, -0.5, v24
	v_fmac_f32_e32 v24, 0xbf5db3d7, v20
	v_add_f32_e32 v94, v4, v56
	v_add_f32_e32 v110, v19, v24
	v_sub_f32_e32 v4, v4, v56
	v_sub_f32_e32 v56, v19, v24
	v_mov_b32_e32 v19, 2
	v_lshlrev_b32_sdwa v6, v19, v6 dst_sel:DWORD dst_unused:UNUSED_PAD src0_sel:DWORD src1_sel:BYTE_0
	v_add3_u32 v5, 0, v5, v6
	v_mul_u32_u24_e32 v6, 0xf0, v7
	v_lshlrev_b32_sdwa v7, v19, v8 dst_sel:DWORD dst_unused:UNUSED_PAD src0_sel:DWORD src1_sel:BYTE_0
	; wave barrier
	ds_write2_b32 v5, v44, v86 offset1:10
	ds_write2_b32 v5, v89, v46 offset0:20 offset1:30
	ds_write2_b32 v5, v52, v22 offset0:40 offset1:50
	v_add3_u32 v44, 0, v6, v7
	ds_write2_b32 v44, v45, v93 offset1:10
	ds_write2_b32 v44, v97, v2 offset0:20 offset1:30
	ds_write2_b32 v44, v47, v14 offset0:40 offset1:50
	v_mul_u32_u24_e32 v2, 0xf0, v9
	v_lshlrev_b32_sdwa v6, v19, v11 dst_sel:DWORD dst_unused:UNUSED_PAD src0_sel:DWORD src1_sel:BYTE_0
	v_add3_u32 v45, 0, v2, v6
	v_mul_u32_u24_e32 v2, 0xf0, v15
	v_lshlrev_b32_sdwa v6, v19, v17 dst_sel:DWORD dst_unused:UNUSED_PAD src0_sel:DWORD src1_sel:BYTE_0
	ds_write2_b32 v45, v34, v92 offset1:10
	ds_write2_b32 v45, v96, v36 offset0:20 offset1:30
	ds_write2_b32 v45, v42, v12 offset0:40 offset1:50
	v_add3_u32 v36, 0, v2, v6
	v_perm_b32 v2, v120, v16, s0
	v_pk_mul_lo_u16 v2, v2, s6 op_sel_hi:[1,0]
	v_lshlrev_b32_e32 v7, 2, v13
	v_and_b32_e32 v6, 0xfff0, v2
	v_add_f32_e32 v27, v27, v51
	v_mul_f32_e32 v51, 0x3f5db3d7, v29
	ds_write2_b32 v36, v35, v91 offset1:10
	ds_write2_b32 v36, v95, v37 offset0:20 offset1:30
	ds_write2_b32 v36, v38, v23 offset0:40 offset1:50
	v_add3_u32 v37, 0, v6, v7
	v_add_f32_e32 v104, v10, v103
	v_sub_f32_e32 v10, v10, v103
	v_fmac_f32_e32 v51, 0.5, v50
	ds_write2_b32 v37, v21, v101 offset1:10
	ds_write2_b32 v37, v104, v3 offset0:20 offset1:30
	ds_write2_b32 v37, v26, v10 offset0:40 offset1:50
	v_lshrrev_b32_e32 v2, 16, v2
	v_lshlrev_b32_e32 v3, 2, v79
	v_add_f32_e32 v25, v18, v27
	v_add_f32_e32 v53, v32, v51
	v_mul_f32_e32 v50, 0xbf5db3d7, v50
	v_add3_u32 v46, 0, v2, v3
	v_fmac_f32_e32 v50, 0.5, v29
	v_sub_f32_e32 v18, v18, v27
	v_sub_f32_e32 v20, v32, v51
	ds_write2_b32 v46, v25, v53 offset1:10
	ds_write2_b32 v46, v94, v18 offset0:20 offset1:30
	ds_write2_b32 v46, v20, v4 offset0:40 offset1:50
	v_mul_u32_u24_e32 v4, 5, v122
	v_add_f32_e32 v103, v30, v33
	v_add_f32_e32 v106, v31, v50
	v_sub_f32_e32 v51, v30, v33
	v_sub_f32_e32 v50, v31, v50
	s_waitcnt lgkmcnt(0)
	; wave barrier
	s_waitcnt lgkmcnt(0)
	ds_read2_b32 v[2:3], v68 offset1:180
	ds_read2_b32 v[52:53], v71 offset0:104 offset1:164
	ds_read2_b32 v[34:35], v60 offset0:80 offset1:140
	;; [unrolled: 1-line block ×10, first 2 shown]
	ds_read_b32 v38, v66
	ds_read2_b32 v[14:15], v74 offset0:88 offset1:148
	ds_read2_b32 v[12:13], v83 offset0:192 offset1:252
	;; [unrolled: 1-line block ×5, first 2 shown]
	ds_read_b32 v42, v78
	ds_read_b32 v79, v55
	;; [unrolled: 1-line block ×3, first 2 shown]
	s_waitcnt lgkmcnt(0)
	; wave barrier
	s_waitcnt lgkmcnt(0)
	ds_write2_b32 v5, v107, v48 offset1:10
	ds_write2_b32 v5, v85, v57 offset0:20 offset1:30
	ds_write2_b32 v5, v58, v59 offset0:40 offset1:50
	ds_write2_b32 v44, v108, v49 offset1:10
	ds_write2_b32 v44, v88, v80 offset0:20 offset1:30
	ds_write2_b32 v44, v81, v61 offset0:40 offset1:50
	;; [unrolled: 3-line block ×6, first 2 shown]
	v_lshlrev_b32_e32 v28, 3, v4
	s_waitcnt lgkmcnt(0)
	; wave barrier
	s_waitcnt lgkmcnt(0)
	global_load_dwordx4 v[44:47], v28, s[4:5] offset:400
	global_load_dwordx4 v[48:51], v28, s[4:5] offset:416
	global_load_dwordx2 v[80:81], v28, s[4:5] offset:432
	v_mul_lo_u16_sdwa v39, v124, s2 dst_sel:DWORD dst_unused:UNUSED_PAD src0_sel:BYTE_0 src1_sel:DWORD
	ds_read2_b32 v[4:5], v68 offset1:180
	ds_read2_b32 v[106:107], v71 offset0:104 offset1:164
	ds_read2_b32 v[108:109], v60 offset0:80 offset1:140
	;; [unrolled: 1-line block ×9, first 2 shown]
	v_lshrrev_b16_e32 v39, 13, v39
	v_mul_lo_u16_e32 v39, 60, v39
	v_sub_u16_e32 v39, v124, v39
	v_mul_lo_u16_sdwa v86, v76, s2 dst_sel:DWORD dst_unused:UNUSED_PAD src0_sel:BYTE_0 src1_sel:DWORD
	s_mov_b32 s2, 0x8889
	v_and_b32_e32 v39, 0xff, v39
	v_lshrrev_b16_e32 v86, 13, v86
	v_mul_u32_u24_e32 v40, 5, v39
	v_mul_lo_u16_e32 v86, 60, v86
	v_lshlrev_b32_e32 v41, 3, v40
	v_sub_u16_e32 v86, v76, v86
	global_load_dwordx4 v[56:59], v41, s[4:5] offset:416
	global_load_dwordx4 v[62:65], v41, s[4:5] offset:400
	ds_read2_b32 v[126:127], v77 offset0:128 offset1:188
	ds_read_b32 v43, v66
	ds_read2_b32 v[128:129], v74 offset0:88 offset1:148
	ds_read2_b32 v[130:131], v83 offset0:192 offset1:252
	;; [unrolled: 1-line block ×5, first 2 shown]
	ds_read_b32 v54, v78
	ds_read_b32 v61, v55
	;; [unrolled: 1-line block ×3, first 2 shown]
	global_load_dwordx2 v[138:139], v41, s[4:5] offset:432
	v_and_b32_e32 v41, 0xff, v86
	v_mul_u32_u24_e32 v86, 5, v41
	v_lshlrev_b32_e32 v90, 3, v86
	global_load_dwordx4 v[86:89], v90, s[4:5] offset:400
	global_load_dwordx2 v[140:141], v90, s[4:5] offset:432
	s_nop 0
	global_load_dwordx4 v[90:93], v90, s[4:5] offset:416
	s_mov_b32 s0, 0x3f5db3d7
	s_mov_b32 s1, 0xbf5db3d7
	s_waitcnt vmcnt(8) lgkmcnt(14)
	v_mul_f32_e32 v85, v106, v45
	v_fma_f32 v85, v52, v44, -v85
	v_mul_f32_e32 v142, v52, v45
	v_mul_f32_e32 v52, v108, v47
	v_fmac_f32_e32 v142, v106, v44
	v_fma_f32 v106, v34, v46, -v52
	v_mul_f32_e32 v143, v34, v47
	s_waitcnt vmcnt(7)
	v_mul_f32_e32 v34, v110, v49
	v_fmac_f32_e32 v143, v108, v46
	v_fma_f32 v108, v32, v48, -v34
	v_mul_f32_e32 v144, v32, v49
	v_mul_u32_u24_sdwa v32, v67, s2 dst_sel:DWORD dst_unused:UNUSED_PAD src0_sel:WORD_0 src1_sel:DWORD
	v_mul_f32_e32 v52, v112, v51
	v_lshrrev_b32_e32 v32, 21, v32
	v_fmac_f32_e32 v144, v110, v48
	v_fma_f32 v110, v30, v50, -v52
	v_mul_f32_e32 v30, v30, v51
	s_waitcnt vmcnt(6)
	v_mul_f32_e32 v52, v114, v81
	v_mul_lo_u16_e32 v32, 60, v32
	v_fmac_f32_e32 v30, v112, v50
	v_fma_f32 v112, v26, v80, -v52
	v_mul_f32_e32 v52, v107, v45
	v_mul_f32_e32 v145, v53, v45
	v_mul_u32_u24_sdwa v45, v70, s2 dst_sel:DWORD dst_unused:UNUSED_PAD src0_sel:WORD_0 src1_sel:DWORD
	v_sub_u16_e32 v32, v67, v32
	v_lshrrev_b32_e32 v45, 21, v45
	v_mul_u32_u24_e32 v34, 5, v32
	v_mul_lo_u16_e32 v45, 60, v45
	v_lshlrev_b32_e32 v34, 3, v34
	v_mul_f32_e32 v26, v26, v81
	v_sub_u16_e32 v146, v70, v45
	global_load_dwordx4 v[94:97], v34, s[4:5] offset:416
	global_load_dwordx4 v[98:101], v34, s[4:5] offset:400
	v_fmac_f32_e32 v26, v114, v80
	v_fma_f32 v114, v53, v44, -v52
	global_load_dwordx2 v[52:53], v34, s[4:5] offset:432
	v_mul_u32_u24_e32 v34, 5, v146
	v_lshlrev_b32_e32 v45, 3, v34
	v_mul_f32_e32 v34, v109, v47
	v_mul_f32_e32 v147, v35, v47
	global_load_dwordx4 v[102:105], v45, s[4:5] offset:400
	v_fmac_f32_e32 v145, v107, v44
	v_fma_f32 v107, v35, v46, -v34
	v_fmac_f32_e32 v147, v109, v46
	global_load_dwordx2 v[34:35], v45, s[4:5] offset:432
	s_nop 0
	global_load_dwordx4 v[44:47], v45, s[4:5] offset:416
	v_mul_f32_e32 v109, v111, v49
	v_fma_f32 v109, v33, v48, -v109
	v_mul_f32_e32 v33, v33, v49
	v_fmac_f32_e32 v33, v111, v48
	v_mul_f32_e32 v48, v113, v51
	v_fma_f32 v48, v31, v50, -v48
	v_mul_f32_e32 v31, v31, v51
	v_fmac_f32_e32 v31, v113, v50
	s_waitcnt vmcnt(10) lgkmcnt(13)
	v_mul_f32_e32 v50, v116, v63
	v_fma_f32 v50, v24, v62, -v50
	v_mul_f32_e32 v24, v24, v63
	v_fmac_f32_e32 v24, v116, v62
	s_waitcnt lgkmcnt(11)
	v_mul_f32_e32 v62, v120, v57
	v_fma_f32 v62, v20, v56, -v62
	v_mul_f32_e32 v20, v20, v57
	s_waitcnt vmcnt(8)
	v_mul_f32_e32 v57, v117, v87
	v_fma_f32 v57, v25, v86, -v57
	v_mul_f32_e32 v25, v25, v87
	v_fmac_f32_e32 v20, v120, v56
	s_waitcnt lgkmcnt(10)
	v_mul_f32_e32 v56, v36, v59
	v_fma_f32 v56, v18, v58, -v56
	v_mul_f32_e32 v18, v18, v59
	v_fmac_f32_e32 v18, v36, v58
	v_mul_f32_e32 v58, v119, v89
	v_fma_f32 v58, v23, v88, -v58
	v_mul_f32_e32 v23, v23, v89
	v_fmac_f32_e32 v23, v119, v88
	v_add_f32_e32 v88, v108, v112
	s_waitcnt vmcnt(6)
	v_mul_f32_e32 v59, v121, v91
	v_mul_f32_e32 v49, v115, v81
	v_fma_f32 v59, v21, v90, -v59
	v_mul_f32_e32 v21, v21, v91
	v_fma_f32 v49, v27, v80, -v49
	v_mul_f32_e32 v27, v27, v81
	v_fmac_f32_e32 v21, v121, v90
	v_mul_f32_e32 v63, v37, v93
	v_fmac_f32_e32 v27, v115, v80
	v_fma_f32 v63, v19, v92, -v63
	v_mul_f32_e32 v19, v19, v93
	v_fmac_f32_e32 v19, v37, v92
	v_mul_f32_e32 v51, v118, v65
	v_fma_f32 v51, v22, v64, -v51
	v_mul_f32_e32 v22, v22, v65
	v_fmac_f32_e32 v22, v118, v64
	s_waitcnt lgkmcnt(9)
	v_mul_f32_e32 v36, v126, v139
	v_fma_f32 v36, v16, v138, -v36
	v_mul_f32_e32 v16, v16, v139
	v_fmac_f32_e32 v16, v126, v138
	v_mul_f32_e32 v37, v127, v141
	v_fma_f32 v37, v17, v140, -v37
	v_mul_f32_e32 v17, v17, v141
	v_fmac_f32_e32 v17, v127, v140
	v_fmac_f32_e32 v25, v117, v86
	s_waitcnt lgkmcnt(0)
	; wave barrier
	s_waitcnt vmcnt(5) lgkmcnt(0)
	v_mul_f32_e32 v81, v134, v97
	v_fma_f32 v81, v8, v96, -v81
	v_mul_f32_e32 v8, v8, v97
	v_mul_f32_e32 v80, v132, v95
	v_fmac_f32_e32 v8, v134, v96
	v_fma_f32 v80, v10, v94, -v80
	v_mul_f32_e32 v10, v10, v95
	v_fmac_f32_e32 v10, v132, v94
	s_waitcnt vmcnt(4)
	v_mul_f32_e32 v64, v128, v99
	v_fma_f32 v64, v14, v98, -v64
	v_mul_f32_e32 v14, v14, v99
	v_fmac_f32_e32 v14, v128, v98
	v_mul_f32_e32 v65, v130, v101
	s_waitcnt vmcnt(0)
	v_mul_f32_e32 v87, v133, v45
	v_fma_f32 v87, v11, v44, -v87
	v_mul_f32_e32 v11, v11, v45
	v_mul_f32_e32 v45, v137, v35
	v_fmac_f32_e32 v11, v133, v44
	v_mul_f32_e32 v44, v135, v47
	v_fma_f32 v45, v7, v34, -v45
	v_mul_f32_e32 v7, v7, v35
	v_add_f32_e32 v35, v106, v110
	v_fma_f32 v44, v9, v46, -v44
	v_mul_f32_e32 v9, v9, v47
	v_fmac_f32_e32 v7, v137, v34
	v_add_f32_e32 v34, v2, v106
	v_fma_f32 v2, -0.5, v35, v2
	v_sub_f32_e32 v35, v143, v30
	v_fmac_f32_e32 v9, v135, v46
	v_fmamk_f32 v46, v35, 0x3f5db3d7, v2
	v_fmac_f32_e32 v2, 0xbf5db3d7, v35
	v_add_f32_e32 v35, v4, v143
	v_add_f32_e32 v35, v35, v30
	;; [unrolled: 1-line block ×3, first 2 shown]
	v_fma_f32 v4, -0.5, v30, v4
	v_sub_f32_e32 v30, v106, v110
	v_fmamk_f32 v47, v30, 0xbf5db3d7, v4
	v_fmac_f32_e32 v4, 0x3f5db3d7, v30
	v_add_f32_e32 v30, v85, v108
	v_fmac_f32_e32 v85, -0.5, v88
	v_sub_f32_e32 v88, v144, v26
	v_fmamk_f32 v89, v88, 0x3f5db3d7, v85
	v_fmac_f32_e32 v85, 0xbf5db3d7, v88
	v_add_f32_e32 v88, v142, v144
	v_add_f32_e32 v88, v88, v26
	;; [unrolled: 1-line block ×3, first 2 shown]
	v_fmac_f32_e32 v142, -0.5, v26
	v_sub_f32_e32 v26, v108, v112
	v_fmamk_f32 v90, v26, 0xbf5db3d7, v142
	v_fmac_f32_e32 v142, 0x3f5db3d7, v26
	v_mul_f32_e32 v91, 0x3f5db3d7, v90
	v_add_f32_e32 v34, v34, v110
	v_add_f32_e32 v30, v30, v112
	v_fmac_f32_e32 v91, 0.5, v89
	v_mul_f32_e32 v96, -0.5, v142
	v_add_f32_e32 v26, v34, v30
	v_add_f32_e32 v92, v46, v91
	;; [unrolled: 1-line block ×3, first 2 shown]
	v_mul_f32_e32 v89, 0xbf5db3d7, v89
	v_fmac_f32_e32 v96, 0xbf5db3d7, v85
	v_sub_f32_e32 v30, v34, v30
	v_sub_f32_e32 v34, v46, v91
	;; [unrolled: 1-line block ×3, first 2 shown]
	v_add_f32_e32 v35, v107, v48
	v_mul_f32_e32 v93, -0.5, v85
	v_fmac_f32_e32 v89, 0.5, v90
	v_add_f32_e32 v85, v4, v96
	v_sub_f32_e32 v88, v4, v96
	v_add_f32_e32 v4, v79, v107
	v_fmac_f32_e32 v79, -0.5, v35
	v_sub_f32_e32 v35, v147, v31
	v_add_f32_e32 v90, v47, v89
	v_sub_f32_e32 v47, v47, v89
	v_fmamk_f32 v89, v35, 0x3f5db3d7, v79
	v_fmac_f32_e32 v79, 0xbf5db3d7, v35
	v_add_f32_e32 v35, v61, v147
	v_add_f32_e32 v35, v35, v31
	;; [unrolled: 1-line block ×3, first 2 shown]
	v_fmac_f32_e32 v61, -0.5, v31
	v_sub_f32_e32 v31, v107, v48
	v_add_f32_e32 v91, v109, v49
	v_fmac_f32_e32 v93, 0x3f5db3d7, v142
	v_add_f32_e32 v4, v4, v48
	v_fmamk_f32 v48, v31, 0xbf5db3d7, v61
	v_fmac_f32_e32 v61, 0x3f5db3d7, v31
	v_add_f32_e32 v31, v114, v109
	v_fmac_f32_e32 v114, -0.5, v91
	v_sub_f32_e32 v91, v33, v27
	v_add_f32_e32 v94, v2, v93
	v_sub_f32_e32 v2, v2, v93
	v_fmamk_f32 v93, v91, 0x3f5db3d7, v114
	v_fmac_f32_e32 v114, 0xbf5db3d7, v91
	v_add_f32_e32 v91, v145, v33
	v_add_f32_e32 v91, v91, v27
	;; [unrolled: 1-line block ×3, first 2 shown]
	v_fmac_f32_e32 v145, -0.5, v27
	v_sub_f32_e32 v27, v109, v49
	v_fmamk_f32 v33, v27, 0xbf5db3d7, v145
	v_add_f32_e32 v31, v31, v49
	v_mul_f32_e32 v49, 0x3f5db3d7, v33
	v_fmac_f32_e32 v145, 0x3f5db3d7, v27
	v_fmac_f32_e32 v49, 0.5, v93
	v_mul_f32_e32 v97, -0.5, v114
	v_mul_f32_e32 v93, 0xbf5db3d7, v93
	v_fmac_f32_e32 v97, 0x3f5db3d7, v145
	v_fmac_f32_e32 v93, 0.5, v33
	v_mul_f32_e32 v33, -0.5, v145
	v_add_f32_e32 v27, v4, v31
	v_add_f32_e32 v96, v89, v49
	;; [unrolled: 1-line block ×4, first 2 shown]
	v_fmac_f32_e32 v33, 0xbf5db3d7, v114
	v_sub_f32_e32 v4, v4, v31
	v_sub_f32_e32 v31, v89, v49
	v_sub_f32_e32 v49, v79, v97
	v_sub_f32_e32 v79, v35, v91
	v_add_f32_e32 v35, v51, v56
	v_fma_f32 v65, v12, v100, -v65
	v_mul_f32_e32 v12, v12, v101
	v_add_f32_e32 v101, v61, v33
	v_sub_f32_e32 v89, v61, v33
	v_add_f32_e32 v33, v42, v51
	v_fmac_f32_e32 v42, -0.5, v35
	v_sub_f32_e32 v35, v22, v18
	v_fmamk_f32 v61, v35, 0x3f5db3d7, v42
	v_fmac_f32_e32 v42, 0xbf5db3d7, v35
	v_add_f32_e32 v35, v54, v22
	v_add_f32_e32 v35, v35, v18
	;; [unrolled: 1-line block ×3, first 2 shown]
	v_fmac_f32_e32 v54, -0.5, v18
	v_sub_f32_e32 v18, v51, v56
	v_add_f32_e32 v51, v62, v36
	v_fmamk_f32 v22, v18, 0xbf5db3d7, v54
	v_fmac_f32_e32 v54, 0x3f5db3d7, v18
	v_add_f32_e32 v18, v50, v62
	v_fmac_f32_e32 v50, -0.5, v51
	v_sub_f32_e32 v51, v20, v16
	v_add_f32_e32 v33, v33, v56
	v_fmamk_f32 v56, v51, 0x3f5db3d7, v50
	v_fmac_f32_e32 v50, 0xbf5db3d7, v51
	v_add_f32_e32 v51, v24, v20
	v_add_f32_e32 v51, v51, v16
	;; [unrolled: 1-line block ×3, first 2 shown]
	v_fmac_f32_e32 v24, -0.5, v16
	v_sub_f32_e32 v16, v62, v36
	v_fmamk_f32 v20, v16, 0xbf5db3d7, v24
	v_add_f32_e32 v18, v18, v36
	v_mul_f32_e32 v36, 0x3f5db3d7, v20
	v_fmac_f32_e32 v24, 0x3f5db3d7, v16
	v_fmac_f32_e32 v36, 0.5, v56
	v_mul_f32_e32 v91, -0.5, v50
	v_mul_f32_e32 v56, 0xbf5db3d7, v56
	v_fmac_f32_e32 v91, 0x3f5db3d7, v24
	v_add_f32_e32 v97, v35, v51
	v_fmac_f32_e32 v56, 0.5, v20
	v_sub_f32_e32 v51, v35, v51
	v_add_f32_e32 v35, v58, v63
	v_fmac_f32_e32 v12, v130, v100
	v_add_f32_e32 v100, v48, v93
	v_sub_f32_e32 v48, v48, v93
	v_add_f32_e32 v16, v33, v18
	v_add_f32_e32 v62, v61, v36
	;; [unrolled: 1-line block ×4, first 2 shown]
	v_sub_f32_e32 v18, v33, v18
	v_sub_f32_e32 v33, v61, v36
	;; [unrolled: 1-line block ×4, first 2 shown]
	v_add_f32_e32 v22, v3, v58
	v_fmac_f32_e32 v3, -0.5, v35
	v_sub_f32_e32 v35, v23, v19
	v_mul_f32_e32 v24, -0.5, v24
	v_fmamk_f32 v42, v35, 0x3f5db3d7, v3
	v_fmac_f32_e32 v3, 0xbf5db3d7, v35
	v_add_f32_e32 v35, v5, v23
	v_fmac_f32_e32 v24, 0xbf5db3d7, v50
	v_add_f32_e32 v35, v35, v19
	v_add_f32_e32 v19, v23, v19
	;; [unrolled: 1-line block ×3, first 2 shown]
	v_sub_f32_e32 v24, v54, v24
	v_fmac_f32_e32 v5, -0.5, v19
	v_sub_f32_e32 v19, v58, v63
	v_add_f32_e32 v54, v59, v37
	v_fmamk_f32 v23, v19, 0xbf5db3d7, v5
	v_fmac_f32_e32 v5, 0x3f5db3d7, v19
	v_add_f32_e32 v19, v57, v59
	v_fmac_f32_e32 v57, -0.5, v54
	v_sub_f32_e32 v54, v21, v17
	v_fmamk_f32 v56, v54, 0x3f5db3d7, v57
	v_fmac_f32_e32 v57, 0xbf5db3d7, v54
	v_add_f32_e32 v54, v25, v21
	v_mul_f32_e32 v86, v136, v53
	v_add_f32_e32 v54, v54, v17
	v_add_f32_e32 v17, v21, v17
	v_fma_f32 v86, v6, v52, -v86
	v_mul_f32_e32 v6, v6, v53
	v_fmac_f32_e32 v25, -0.5, v17
	v_sub_f32_e32 v17, v59, v37
	v_fmac_f32_e32 v6, v136, v52
	v_mul_f32_e32 v52, v129, v103
	v_mul_f32_e32 v53, v131, v105
	v_fmamk_f32 v21, v17, 0xbf5db3d7, v25
	v_fmac_f32_e32 v25, 0x3f5db3d7, v17
	v_mul_f32_e32 v59, -0.5, v57
	v_fma_f32 v52, v15, v102, -v52
	v_mul_f32_e32 v15, v15, v103
	v_fma_f32 v53, v13, v104, -v53
	v_mul_f32_e32 v13, v13, v105
	v_fmac_f32_e32 v59, 0x3f5db3d7, v25
	v_mul_f32_e32 v25, -0.5, v25
	v_fmac_f32_e32 v15, v129, v102
	v_fmac_f32_e32 v13, v131, v104
	v_add_f32_e32 v19, v19, v37
	v_mul_f32_e32 v37, 0x3f5db3d7, v21
	v_add_f32_e32 v102, v35, v54
	v_fmac_f32_e32 v25, 0xbf5db3d7, v57
	v_sub_f32_e32 v104, v35, v54
	v_add_f32_e32 v35, v65, v81
	v_add_f32_e32 v22, v22, v63
	v_fmac_f32_e32 v37, 0.5, v56
	v_add_f32_e32 v103, v5, v25
	v_sub_f32_e32 v25, v5, v25
	v_add_f32_e32 v5, v38, v65
	v_fmac_f32_e32 v38, -0.5, v35
	v_sub_f32_e32 v35, v12, v8
	v_add_f32_e32 v17, v22, v19
	v_add_f32_e32 v58, v42, v37
	v_sub_f32_e32 v19, v22, v19
	v_sub_f32_e32 v22, v42, v37
	v_fmamk_f32 v37, v35, 0x3f5db3d7, v38
	v_fmac_f32_e32 v38, 0xbf5db3d7, v35
	v_add_f32_e32 v35, v43, v12
	v_add_f32_e32 v35, v35, v8
	;; [unrolled: 1-line block ×3, first 2 shown]
	v_fmac_f32_e32 v43, -0.5, v8
	v_sub_f32_e32 v8, v65, v81
	v_add_f32_e32 v42, v80, v86
	v_fmamk_f32 v12, v8, 0xbf5db3d7, v43
	v_fmac_f32_e32 v43, 0x3f5db3d7, v8
	v_add_f32_e32 v8, v64, v80
	v_fmac_f32_e32 v64, -0.5, v42
	v_sub_f32_e32 v42, v10, v6
	v_fmamk_f32 v54, v42, 0x3f5db3d7, v64
	v_fmac_f32_e32 v64, 0xbf5db3d7, v42
	v_add_f32_e32 v42, v14, v10
	v_add_f32_e32 v42, v42, v6
	;; [unrolled: 1-line block ×3, first 2 shown]
	v_mul_f32_e32 v56, 0xbf5db3d7, v56
	v_fmac_f32_e32 v14, -0.5, v6
	v_sub_f32_e32 v6, v80, v86
	v_fmac_f32_e32 v56, 0.5, v21
	v_fmamk_f32 v10, v6, 0xbf5db3d7, v14
	v_add_f32_e32 v21, v23, v56
	v_sub_f32_e32 v23, v23, v56
	v_mul_f32_e32 v56, 0x3f5db3d7, v10
	v_fmac_f32_e32 v14, 0x3f5db3d7, v6
	v_fmac_f32_e32 v56, 0.5, v54
	v_mul_f32_e32 v54, 0xbf5db3d7, v54
	v_fmac_f32_e32 v54, 0.5, v10
	v_mul_f32_e32 v10, -0.5, v14
	v_add_f32_e32 v61, v3, v59
	v_sub_f32_e32 v3, v3, v59
	v_add_f32_e32 v5, v5, v81
	v_mul_f32_e32 v59, -0.5, v64
	v_add_f32_e32 v81, v12, v54
	v_fmac_f32_e32 v10, 0xbf5db3d7, v64
	v_sub_f32_e32 v105, v12, v54
	v_add_f32_e32 v12, v53, v44
	v_fmac_f32_e32 v59, 0x3f5db3d7, v14
	v_add_f32_e32 v14, v43, v10
	v_sub_f32_e32 v43, v43, v10
	v_add_f32_e32 v10, v29, v53
	v_fmac_f32_e32 v29, -0.5, v12
	v_sub_f32_e32 v12, v13, v9
	v_add_f32_e32 v8, v8, v86
	v_add_f32_e32 v80, v35, v42
	v_sub_f32_e32 v86, v35, v42
	v_fmamk_f32 v35, v12, 0x3f5db3d7, v29
	v_fmac_f32_e32 v29, 0xbf5db3d7, v12
	v_add_f32_e32 v12, v40, v13
	v_add_f32_e32 v12, v12, v9
	;; [unrolled: 1-line block ×6, first 2 shown]
	v_sub_f32_e32 v5, v5, v8
	v_sub_f32_e32 v8, v37, v56
	;; [unrolled: 1-line block ×3, first 2 shown]
	v_fmac_f32_e32 v40, -0.5, v9
	v_sub_f32_e32 v9, v53, v44
	v_add_f32_e32 v38, v87, v45
	v_fmamk_f32 v13, v9, 0xbf5db3d7, v40
	v_fmac_f32_e32 v40, 0x3f5db3d7, v9
	v_add_f32_e32 v9, v52, v87
	v_fmac_f32_e32 v52, -0.5, v38
	v_sub_f32_e32 v38, v11, v7
	v_fmamk_f32 v42, v38, 0x3f5db3d7, v52
	v_fmac_f32_e32 v52, 0xbf5db3d7, v38
	v_add_f32_e32 v38, v15, v11
	v_add_f32_e32 v38, v38, v7
	;; [unrolled: 1-line block ×3, first 2 shown]
	v_fmac_f32_e32 v15, -0.5, v7
	v_sub_f32_e32 v7, v87, v45
	v_fmamk_f32 v11, v7, 0xbf5db3d7, v15
	v_fmac_f32_e32 v15, 0x3f5db3d7, v7
	v_mul_f32_e32 v53, -0.5, v52
	v_fmac_f32_e32 v53, 0x3f5db3d7, v15
	v_add_f32_e32 v54, v29, v53
	v_sub_f32_e32 v29, v29, v53
	v_add_u32_e32 v53, 0x200, v68
	ds_write2_b32 v68, v26, v92 offset1:60
	ds_write2_b32 v68, v94, v30 offset0:120 offset1:180
	ds_write2_b32 v53, v34, v2 offset0:112 offset1:172
	;; [unrolled: 1-line block ×5, first 2 shown]
	v_lshl_add_u32 v2, v39, 2, 0
	v_add_u32_e32 v49, 0xa00, v2
	ds_write2_b32 v49, v16, v62 offset0:80 offset1:140
	v_add_u32_e32 v16, 0xc00, v2
	v_lshl_add_u32 v2, v41, 2, 0
	ds_write2_b32 v16, v93, v18 offset0:72 offset1:132
	ds_write2_b32 v16, v33, v36 offset0:192 offset1:252
	v_add_u32_e32 v18, 0x1000, v2
	v_add_f32_e32 v10, v10, v44
	v_mul_f32_e32 v44, 0x3f5db3d7, v11
	ds_write2_b32 v18, v17, v58 offset0:56 offset1:116
	ds_write2_b32 v18, v61, v19 offset0:176 offset1:236
	v_add_u32_e32 v17, 0x1400, v2
	v_lshl_add_u32 v2, v32, 2, 0
	v_add_f32_e32 v9, v9, v45
	v_fmac_f32_e32 v44, 0.5, v42
	v_mul_f32_e32 v42, 0xbf5db3d7, v42
	ds_write2_b32 v17, v22, v3 offset0:40 offset1:100
	v_add_u32_e32 v3, 0x1400, v2
	v_add_u32_e32 v19, 0x1800, v2
	v_lshl_add_u32 v2, v146, 2, 0
	v_add_f32_e32 v7, v10, v9
	v_add_f32_e32 v45, v35, v44
	v_fmac_f32_e32 v42, 0.5, v11
	v_mul_f32_e32 v11, -0.5, v15
	v_add_u32_e32 v41, 0x1c00, v2
	v_fmac_f32_e32 v11, 0xbf5db3d7, v52
	v_sub_f32_e32 v9, v10, v9
	v_sub_f32_e32 v10, v35, v44
	ds_write2_b32 v3, v6, v57 offset0:160 offset1:220
	ds_write2_b32 v19, v63, v5 offset0:24 offset1:84
	;; [unrolled: 1-line block ×5, first 2 shown]
	v_add_u32_e32 v45, 0x1e00, v2
	v_add_f32_e32 v87, v12, v38
	v_add_f32_e32 v106, v13, v42
	;; [unrolled: 1-line block ×3, first 2 shown]
	v_sub_f32_e32 v44, v12, v38
	v_sub_f32_e32 v52, v13, v42
	;; [unrolled: 1-line block ×3, first 2 shown]
	ds_write2_b32 v45, v10, v29 offset0:120 offset1:180
	s_waitcnt lgkmcnt(0)
	; wave barrier
	s_waitcnt lgkmcnt(0)
	ds_read2_b32 v[26:27], v68 offset1:180
	ds_read2_b32 v[56:57], v71 offset0:104 offset1:164
	ds_read2_b32 v[64:65], v60 offset0:80 offset1:140
	;; [unrolled: 1-line block ×10, first 2 shown]
	ds_read_b32 v22, v66
	ds_read2_b32 v[4:5], v74 offset0:88 offset1:148
	ds_read2_b32 v[12:13], v83 offset0:192 offset1:252
	;; [unrolled: 1-line block ×5, first 2 shown]
	ds_read_b32 v42, v78
	ds_read_b32 v54, v55
	ds_read_b32 v2, v69
	s_waitcnt lgkmcnt(0)
	; wave barrier
	s_waitcnt lgkmcnt(0)
	ds_write2_b32 v68, v95, v90 offset1:60
	ds_write2_b32 v68, v85, v46 offset0:120 offset1:180
	ds_write2_b32 v53, v47, v88 offset0:112 offset1:172
	;; [unrolled: 1-line block ×17, first 2 shown]
	s_waitcnt lgkmcnt(0)
	; wave barrier
	s_waitcnt lgkmcnt(0)
	s_and_saveexec_b64 s[2:3], vcc
	s_cbranch_execz .LBB0_21
; %bb.20:
	v_mov_b32_e32 v29, 0
	v_mul_u32_u24_e32 v3, 5, v70
	v_lshl_add_u64 v[44:45], s[4:5], 0, v[28:29]
	v_lshlrev_b32_e32 v77, 3, v3
	v_add_u32_e32 v28, 0xc00, v68
	v_add_u32_e32 v40, 0x1800, v68
	;; [unrolled: 1-line block ×4, first 2 shown]
	ds_read2_b32 v[20:21], v28 offset0:192 offset1:252
	ds_read2_b32 v[16:17], v40 offset0:144 offset1:204
	;; [unrolled: 1-line block ×4, first 2 shown]
	global_load_dwordx4 v[82:85], v[44:45], off offset:2816
	global_load_dwordx4 v[86:89], v[44:45], off offset:2800
	v_add_u32_e32 v3, 0x1e00, v68
	ds_read2_b32 v[24:25], v3 offset0:120 offset1:180
	v_mul_u32_u24_e32 v3, 5, v67
	v_mul_u32_u24_e32 v41, 5, v76
	v_lshlrev_b32_e32 v79, 3, v3
	ds_read_b32 v3, v69
	ds_read_b32 v23, v66
	v_lshlrev_b32_e32 v80, 3, v41
	ds_read2_b32 v[52:53], v28 offset0:72 offset1:132
	ds_read2_b32 v[50:51], v40 offset0:24 offset1:84
	ds_read2_b32 v[40:41], v68 offset1:180
	global_load_dwordx2 v[90:91], v[44:45], off offset:2832
	v_add_u32_e32 v28, 0x600, v68
	ds_read2_b32 v[44:45], v28 offset0:96 offset1:156
	v_mul_i32_i24_e32 v28, 5, v124
	v_lshl_add_u64 v[66:67], v[28:29], 3, s[4:5]
	v_mul_i32_i24_e32 v28, 5, v125
	v_add_u32_e32 v69, 0x1000, v68
	v_add_u32_e32 v81, 0x1c00, v68
	v_lshl_add_u64 v[92:93], v[28:29], 3, s[4:5]
	v_add_u32_e32 v28, 0xa00, v68
	v_mad_u64_u32 v[94:95], s[2:3], s8, v122, 0
	ds_read2_b32 v[48:49], v69 offset0:176 offset1:236
	ds_read2_b32 v[46:47], v81 offset0:128 offset1:188
	;; [unrolled: 1-line block ×4, first 2 shown]
	ds_read_b32 v43, v78
	ds_read_b32 v55, v55
	v_add_u32_e32 v28, 0x400, v68
	v_mov_b32_e32 v78, v95
	ds_read2_b32 v[28:29], v28 offset0:104 offset1:164
	ds_read2_b32 v[70:71], v69 offset0:56 offset1:116
	;; [unrolled: 1-line block ×3, first 2 shown]
	v_mad_u64_u32 v[96:97], s[2:3], s9, v122, v[78:79]
	v_add_u32_e32 v81, 0x168, v122
	v_mov_b32_e32 v95, v96
	v_mad_u64_u32 v[96:97], s[2:3], s8, v81, 0
	v_mov_b32_e32 v78, v97
	v_mad_u64_u32 v[98:99], s[2:3], s9, v81, v[78:79]
	v_add_u32_e32 v81, 0x2d0, v122
	v_mov_b32_e32 v97, v98
	v_mad_u64_u32 v[98:99], s[2:3], s8, v81, 0
	v_mov_b32_e32 v78, v99
	;; [unrolled: 5-line block ×5, first 2 shown]
	v_mad_u64_u32 v[106:107], s[6:7], s9, v81, v[78:79]
	v_mov_b32_e32 v105, v106
	v_mov_b32_e32 v120, v26
	s_waitcnt lgkmcnt(10)
	v_mov_b32_e32 v121, v40
	v_lshl_add_u64 v[94:95], v[94:95], 3, v[0:1]
	v_lshl_add_u64 v[96:97], v[96:97], 3, v[0:1]
	v_lshl_add_u64 v[98:99], v[98:99], 3, v[0:1]
	v_lshl_add_u64 v[100:101], v[100:101], 3, v[0:1]
	v_lshl_add_u64 v[102:103], v[102:103], 3, v[0:1]
	v_lshl_add_u64 v[104:105], v[104:105], 3, v[0:1]
	s_waitcnt lgkmcnt(6)
	v_mov_b32_e32 v40, v75
	s_mov_b32 s3, 0x16c16c17
	s_movk_i32 s2, 0x708
	s_waitcnt vmcnt(1)
	v_pk_mul_f32 v[106:107], v[88:89], v[74:75] op_sel_hi:[1,0]
	s_nop 0
	v_pk_fma_f32 v[108:109], v[64:65], v[88:89], v[106:107] op_sel:[0,0,1] op_sel_hi:[1,1,0] neg_lo:[0,0,1] neg_hi:[0,0,1]
	v_pk_fma_f32 v[88:89], v[64:65], v[88:89], v[106:107] op_sel:[0,0,1] op_sel_hi:[0,1,0]
	v_mov_b32_e32 v109, v89
	s_waitcnt lgkmcnt(5)
	v_pk_mul_f32 v[88:89], v[84:85], v[72:73] op_sel_hi:[1,0]
	s_nop 0
	v_pk_fma_f32 v[106:107], v[62:63], v[84:85], v[88:89] op_sel:[0,0,1] op_sel_hi:[1,1,0] neg_lo:[0,0,1] neg_hi:[0,0,1]
	v_pk_fma_f32 v[84:85], v[62:63], v[84:85], v[88:89] op_sel:[0,0,1] op_sel_hi:[0,1,0]
	v_mov_b32_e32 v107, v85
	v_pk_mul_f32 v[84:85], v[60:61], v[82:83] op_sel_hi:[0,1]
	s_waitcnt lgkmcnt(1)
	v_pk_fma_f32 v[110:111], v[82:83], v[70:71], v[84:85] op_sel:[0,0,1] op_sel_hi:[1,1,0]
	v_pk_fma_f32 v[82:83], v[82:83], v[70:71], v[84:85] op_sel:[0,0,1] op_sel_hi:[1,0,0] neg_lo:[1,0,0] neg_hi:[1,0,0]
	v_pk_mul_f32 v[84:85], v[56:57], v[86:87] op_sel_hi:[0,1]
	v_mov_b32_e32 v111, v83
	s_waitcnt vmcnt(0)
	v_pk_mul_f32 v[82:83], v[58:59], v[90:91] op_sel_hi:[0,1]
	s_waitcnt lgkmcnt(0)
	v_pk_fma_f32 v[112:113], v[90:91], v[68:69], v[82:83] op_sel:[0,0,1] op_sel_hi:[1,1,0]
	v_pk_fma_f32 v[82:83], v[90:91], v[68:69], v[82:83] op_sel:[0,0,1] op_sel_hi:[1,0,0] neg_lo:[1,0,0] neg_hi:[1,0,0]
	v_pk_fma_f32 v[90:91], v[86:87], v[28:29], v[84:85] op_sel:[0,0,1] op_sel_hi:[1,1,0]
	v_mov_b32_e32 v113, v83
	v_pk_fma_f32 v[84:85], v[86:87], v[28:29], v[84:85] op_sel:[0,0,1] op_sel_hi:[1,0,0] neg_lo:[1,0,0] neg_hi:[1,0,0]
	v_pk_add_f32 v[82:83], v[110:111], v[112:113] neg_lo:[0,1] neg_hi:[0,1]
	v_mov_b32_e32 v91, v85
	v_pk_add_f32 v[84:85], v[110:111], v[112:113]
	v_pk_mul_f32 v[82:83], v[82:83], s[0:1] op_sel_hi:[1,0]
	v_pk_fma_f32 v[84:85], v[84:85], 0.5, v[90:91] op_sel_hi:[1,0,1] neg_lo:[1,0,0] neg_hi:[1,0,0]
	v_pk_add_f32 v[90:91], v[90:91], v[110:111]
	v_pk_add_f32 v[114:115], v[84:85], v[82:83] op_sel:[0,1] op_sel_hi:[1,0]
	v_pk_add_f32 v[116:117], v[84:85], v[82:83] op_sel:[0,1] op_sel_hi:[1,0] neg_lo:[0,1] neg_hi:[0,1]
	v_pk_add_f32 v[82:83], v[108:109], v[106:107]
	v_mov_b32_e32 v118, v114
	v_pk_fma_f32 v[124:125], v[82:83], 0.5, v[120:121] op_sel_hi:[1,0,1] neg_lo:[1,0,0] neg_hi:[1,0,0]
	v_pk_add_f32 v[82:83], v[108:109], v[106:107] neg_lo:[0,1] neg_hi:[0,1]
	v_mov_b32_e32 v119, v117
	v_pk_mul_f32 v[126:127], v[82:83], s[0:1] op_sel_hi:[1,0]
	global_load_dwordx4 v[82:85], v[92:93], off offset:2816
	global_load_dwordx4 v[86:89], v[92:93], off offset:2800
	v_pk_add_f32 v[108:109], v[120:121], v[108:109]
	global_load_dwordx2 v[92:93], v[92:93], off offset:2832
	v_pk_add_f32 v[128:129], v[124:125], v[126:127] op_sel:[0,1] op_sel_hi:[1,0] neg_lo:[0,1] neg_hi:[0,1]
	v_mul_f32_e32 v26, 0xbf5db3d7, v115
	v_pk_add_f32 v[124:125], v[124:125], v[126:127] op_sel:[0,1] op_sel_hi:[1,0]
	v_pk_mul_f32 v[130:131], v[118:119], 0.5 op_sel_hi:[1,0]
	v_mul_f32_e32 v28, 0x3f5db3d7, v116
	v_pk_add_f32 v[106:107], v[108:109], v[106:107]
	v_pk_add_f32 v[90:91], v[90:91], v[112:113]
	v_fmac_f32_e32 v26, 0.5, v116
	v_mov_b32_e32 v126, v128
	v_mov_b32_e32 v127, v125
	v_pk_fma_f32 v[118:119], v[118:119], s[0:1], v[130:131] op_sel:[0,0,1] op_sel_hi:[1,1,0] neg_lo:[0,0,1] neg_hi:[0,0,1]
	v_fmac_f32_e32 v28, 0.5, v115
	v_pk_add_f32 v[108:109], v[106:107], v[90:91] op_sel:[0,1] op_sel_hi:[1,0] neg_lo:[0,1] neg_hi:[0,1]
	v_pk_add_f32 v[90:91], v[106:107], v[90:91] op_sel:[0,1] op_sel_hi:[1,0]
	v_add_f32_e32 v115, v129, v26
	v_add_f32_e32 v114, v124, v28
	global_store_dwordx2 v[94:95], v[90:91], off
	global_store_dwordx2 v[96:97], v[114:115], off
	v_pk_add_f32 v[90:91], v[126:127], v[118:119]
	v_sub_f32_e32 v117, v129, v26
	v_pk_add_f32 v[130:131], v[126:127], v[118:119] neg_lo:[0,1] neg_hi:[0,1]
	v_sub_f32_e32 v116, v124, v28
	global_store_dwordx2 v[98:99], v[90:91], off
	global_store_dwordx2 v[100:101], v[108:109], off
	;; [unrolled: 1-line block ×4, first 2 shown]
	v_mad_u64_u32 v[90:91], s[6:7], s8, v123, 0
	v_mov_b32_e32 v26, v91
	v_mad_u64_u32 v[94:95], s[6:7], s9, v123, v[26:27]
	v_add_u32_e32 v28, 0x1a4, v122
	v_mov_b32_e32 v91, v94
	v_mad_u64_u32 v[94:95], s[6:7], s8, v28, 0
	v_mov_b32_e32 v26, v95
	v_mad_u64_u32 v[96:97], s[6:7], s9, v28, v[26:27]
	v_add_u32_e32 v28, 0x30c, v122
	v_mov_b32_e32 v95, v96
	;; [unrolled: 5-line block ×5, first 2 shown]
	v_mad_u64_u32 v[102:103], s[6:7], s8, v28, 0
	v_mov_b32_e32 v26, v103
	v_mad_u64_u32 v[104:105], s[6:7], s9, v28, v[26:27]
	v_mov_b32_e32 v26, v65
	v_mov_b32_e32 v28, v65
	;; [unrolled: 1-line block ×3, first 2 shown]
	v_lshl_add_u64 v[90:91], v[90:91], 3, v[0:1]
	v_lshl_add_u64 v[94:95], v[94:95], 3, v[0:1]
	;; [unrolled: 1-line block ×6, first 2 shown]
	s_waitcnt vmcnt(7)
	v_pk_mul_f32 v[64:65], v[88:89], v[40:41] op_sel_hi:[1,0]
	v_mov_b32_e32 v40, v73
	v_pk_fma_f32 v[74:75], v[26:27], v[88:89], v[64:65] op_sel:[0,0,1] op_sel_hi:[1,1,0] neg_lo:[0,0,1] neg_hi:[0,0,1]
	v_pk_fma_f32 v[64:65], v[28:29], v[88:89], v[64:65] op_sel:[0,0,1] op_sel_hi:[0,1,0]
	v_mov_b32_e32 v26, v63
	v_mov_b32_e32 v28, v63
	v_pk_mul_f32 v[62:63], v[84:85], v[40:41] op_sel_hi:[1,0]
	v_mov_b32_e32 v75, v65
	v_pk_fma_f32 v[64:65], v[26:27], v[84:85], v[62:63] op_sel:[0,0,1] op_sel_hi:[1,1,0] neg_lo:[0,0,1] neg_hi:[0,0,1]
	v_mov_b32_e32 v26, v61
	v_pk_mul_f32 v[60:61], v[26:27], v[82:83] op_sel_hi:[0,1]
	v_mov_b32_e32 v26, v71
	v_pk_fma_f32 v[62:63], v[28:29], v[84:85], v[62:63] op_sel:[0,0,1] op_sel_hi:[0,1,0]
	v_mov_b32_e32 v28, v71
	v_pk_fma_f32 v[70:71], v[82:83], v[26:27], v[60:61] op_sel:[0,0,1] op_sel_hi:[1,1,0]
	v_mov_b32_e32 v26, v59
	s_waitcnt vmcnt(6)
	v_pk_mul_f32 v[58:59], v[26:27], v[92:93] op_sel_hi:[0,1]
	v_mov_b32_e32 v26, v69
	v_pk_fma_f32 v[60:61], v[82:83], v[28:29], v[60:61] op_sel:[0,0,1] op_sel_hi:[1,0,0] neg_lo:[1,0,0] neg_hi:[1,0,0]
	v_mov_b32_e32 v28, v69
	v_pk_fma_f32 v[68:69], v[92:93], v[26:27], v[58:59] op_sel:[0,0,1] op_sel_hi:[1,1,0]
	v_mov_b32_e32 v26, v57
	v_pk_fma_f32 v[58:59], v[92:93], v[28:29], v[58:59] op_sel:[0,0,1] op_sel_hi:[1,0,0] neg_lo:[1,0,0] neg_hi:[1,0,0]
	v_pk_mul_f32 v[56:57], v[26:27], v[86:87] op_sel_hi:[0,1]
	v_mov_b32_e32 v26, v29
	v_mov_b32_e32 v28, v29
	;; [unrolled: 1-line block ×5, first 2 shown]
	v_pk_fma_f32 v[72:73], v[86:87], v[26:27], v[56:57] op_sel:[0,0,1] op_sel_hi:[1,1,0]
	v_pk_fma_f32 v[28:29], v[86:87], v[28:29], v[56:57] op_sel:[0,0,1] op_sel_hi:[1,0,0] neg_lo:[1,0,0] neg_hi:[1,0,0]
	v_pk_add_f32 v[58:59], v[70:71], v[68:69] neg_lo:[0,1] neg_hi:[0,1]
	v_mov_b32_e32 v73, v29
	v_pk_add_f32 v[28:29], v[70:71], v[68:69]
	v_pk_add_f32 v[56:57], v[74:75], v[64:65]
	v_pk_mul_f32 v[58:59], v[58:59], s[0:1] op_sel_hi:[1,0]
	v_pk_fma_f32 v[28:29], v[28:29], 0.5, v[72:73] op_sel_hi:[1,0,1] neg_lo:[1,0,0] neg_hi:[1,0,0]
	v_pk_fma_f32 v[86:87], v[56:57], 0.5, v[54:55] op_sel_hi:[1,0,1] neg_lo:[1,0,0] neg_hi:[1,0,0]
	v_pk_add_f32 v[56:57], v[74:75], v[64:65] neg_lo:[0,1] neg_hi:[0,1]
	v_pk_add_f32 v[82:83], v[28:29], v[58:59] op_sel:[0,1] op_sel_hi:[1,0]
	v_pk_add_f32 v[28:29], v[28:29], v[58:59] op_sel:[0,1] op_sel_hi:[1,0] neg_lo:[0,1] neg_hi:[0,1]
	v_pk_mul_f32 v[88:89], v[56:57], s[0:1] op_sel_hi:[1,0]
	global_load_dwordx4 v[56:59], v[66:67], off offset:2800
	global_load_dwordx2 v[104:105], v[66:67], off offset:2832
	global_load_dwordx4 v[60:63], v[66:67], off offset:2816
	v_pk_add_f32 v[54:55], v[54:55], v[74:75]
	v_mov_b32_e32 v84, v82
	v_mov_b32_e32 v85, v29
	v_pk_add_f32 v[54:55], v[54:55], v[64:65]
	v_pk_add_f32 v[64:65], v[72:73], v[70:71]
	v_pk_add_f32 v[92:93], v[86:87], v[88:89] op_sel:[0,1] op_sel_hi:[1,0] neg_lo:[0,1] neg_hi:[0,1]
	v_mul_f32_e32 v26, 0xbf5db3d7, v83
	v_pk_add_f32 v[66:67], v[86:87], v[88:89] op_sel:[0,1] op_sel_hi:[1,0]
	v_pk_mul_f32 v[88:89], v[84:85], 0.5 op_sel_hi:[1,0]
	v_mul_f32_e32 v40, 0x3f5db3d7, v28
	v_pk_add_f32 v[64:65], v[64:65], v[68:69]
	v_fmac_f32_e32 v26, 0.5, v28
	v_mov_b32_e32 v86, v92
	v_mov_b32_e32 v87, v67
	v_pk_fma_f32 v[84:85], v[84:85], s[0:1], v[88:89] op_sel:[0,0,1] op_sel_hi:[1,1,0] neg_lo:[0,0,1] neg_hi:[0,0,1]
	v_fmac_f32_e32 v40, 0.5, v83
	v_pk_add_f32 v[68:69], v[54:55], v[64:65] op_sel:[0,1] op_sel_hi:[1,0] neg_lo:[0,1] neg_hi:[0,1]
	v_pk_add_f32 v[54:55], v[54:55], v[64:65] op_sel:[0,1] op_sel_hi:[1,0]
	v_sub_f32_e32 v29, v93, v26
	v_sub_f32_e32 v28, v66, v40
	v_add_f32_e32 v67, v93, v26
	v_add_f32_e32 v66, v66, v40
	global_store_dwordx2 v[90:91], v[54:55], off
	global_store_dwordx2 v[94:95], v[66:67], off
	v_pk_add_f32 v[54:55], v[86:87], v[84:85]
	v_add_u32_e32 v40, 0x78, v122
	v_pk_add_f32 v[88:89], v[86:87], v[84:85] neg_lo:[0,1] neg_hi:[0,1]
	global_store_dwordx2 v[96:97], v[54:55], off
	global_store_dwordx2 v[98:99], v[68:69], off
	;; [unrolled: 1-line block ×4, first 2 shown]
	v_mad_u64_u32 v[28:29], s[6:7], s8, v40, 0
	v_mov_b32_e32 v26, v29
	v_mad_u64_u32 v[54:55], s[6:7], s9, v40, v[26:27]
	v_add_u32_e32 v40, 0x1e0, v122
	v_mov_b32_e32 v29, v54
	v_mad_u64_u32 v[54:55], s[6:7], s8, v40, 0
	v_mov_b32_e32 v26, v55
	v_mad_u64_u32 v[64:65], s[6:7], s9, v40, v[26:27]
	v_mov_b32_e32 v55, v64
	v_add_u32_e32 v40, 0x348, v122
	v_lshl_add_u64 v[64:65], v[54:55], 3, v[0:1]
	v_mad_u64_u32 v[54:55], s[6:7], s8, v40, 0
	v_mov_b32_e32 v26, v55
	v_mad_u64_u32 v[66:67], s[6:7], s9, v40, v[26:27]
	v_mov_b32_e32 v55, v66
	v_add_u32_e32 v40, 0x4b0, v122
	v_lshl_add_u64 v[66:67], v[54:55], 3, v[0:1]
	;; [unrolled: 6-line block ×3, first 2 shown]
	v_mad_u64_u32 v[54:55], s[6:7], s8, v40, 0
	v_mov_b32_e32 v26, v55
	v_mad_u64_u32 v[70:71], s[6:7], s9, v40, v[26:27]
	v_mov_b32_e32 v55, v70
	v_or_b32_e32 v40, 0x780, v122
	v_lshl_add_u64 v[70:71], v[54:55], 3, v[0:1]
	v_mad_u64_u32 v[54:55], s[6:7], s8, v40, 0
	v_mov_b32_e32 v26, v55
	v_mad_u64_u32 v[72:73], s[6:7], s9, v40, v[26:27]
	v_mov_b32_e32 v55, v72
	v_lshl_add_u64 v[72:73], v[54:55], 3, v[0:1]
	global_load_dwordx2 v[74:75], v80, s[4:5] offset:2832
	v_lshl_add_u64 v[28:29], v[28:29], 3, v[0:1]
	v_mov_b32_e32 v40, v27
	s_waitcnt vmcnt(9)
	v_pk_mul_f32 v[54:55], v[58:59], v[52:53] op_sel_hi:[1,0]
	s_nop 0
	v_pk_fma_f32 v[82:83], v[38:39], v[58:59], v[54:55] op_sel:[0,0,1] op_sel_hi:[1,1,0] neg_lo:[0,0,1] neg_hi:[0,0,1]
	v_pk_fma_f32 v[54:55], v[38:39], v[58:59], v[54:55] op_sel:[0,0,1] op_sel_hi:[0,1,0]
	v_mov_b32_e32 v83, v55
	s_waitcnt vmcnt(7)
	v_pk_mul_f32 v[54:55], v[62:63], v[50:51] op_sel_hi:[1,0]
	v_pk_mul_f32 v[58:59], v[30:31], v[56:57] op_sel_hi:[0,1]
	v_pk_fma_f32 v[84:85], v[36:37], v[62:63], v[54:55] op_sel:[0,0,1] op_sel_hi:[1,1,0] neg_lo:[0,0,1] neg_hi:[0,0,1]
	v_pk_fma_f32 v[54:55], v[36:37], v[62:63], v[54:55] op_sel:[0,0,1] op_sel_hi:[0,1,0]
	v_mov_b32_e32 v85, v55
	v_pk_mul_f32 v[54:55], v[34:35], v[60:61] op_sel_hi:[0,1]
	v_pk_fma_f32 v[62:63], v[60:61], v[48:49], v[54:55] op_sel:[0,0,1] op_sel_hi:[1,1,0]
	v_pk_fma_f32 v[54:55], v[60:61], v[48:49], v[54:55] op_sel:[0,0,1] op_sel_hi:[1,0,0] neg_lo:[1,0,0] neg_hi:[1,0,0]
	v_pk_fma_f32 v[88:89], v[56:57], v[44:45], v[58:59] op_sel:[0,0,1] op_sel_hi:[1,1,0]
	v_mov_b32_e32 v63, v55
	v_pk_mul_f32 v[54:55], v[32:33], v[104:105] op_sel_hi:[0,1]
	v_pk_fma_f32 v[86:87], v[104:105], v[46:47], v[54:55] op_sel:[0,0,1] op_sel_hi:[1,1,0]
	v_pk_fma_f32 v[54:55], v[104:105], v[46:47], v[54:55] op_sel:[0,0,1] op_sel_hi:[1,0,0] neg_lo:[1,0,0] neg_hi:[1,0,0]
	v_pk_fma_f32 v[56:57], v[56:57], v[44:45], v[58:59] op_sel:[0,0,1] op_sel_hi:[1,0,0] neg_lo:[1,0,0] neg_hi:[1,0,0]
	v_mov_b32_e32 v87, v55
	v_pk_add_f32 v[54:55], v[62:63], v[86:87] neg_lo:[0,1] neg_hi:[0,1]
	v_mov_b32_e32 v89, v57
	v_pk_add_f32 v[56:57], v[62:63], v[86:87]
	v_pk_mul_f32 v[54:55], v[54:55], s[0:1] op_sel_hi:[1,0]
	v_pk_fma_f32 v[56:57], v[56:57], 0.5, v[88:89] op_sel_hi:[1,0,1] neg_lo:[1,0,0] neg_hi:[1,0,0]
	v_pk_add_f32 v[98:99], v[82:83], v[84:85] neg_lo:[0,1] neg_hi:[0,1]
	v_pk_add_f32 v[90:91], v[56:57], v[54:55] op_sel:[0,1] op_sel_hi:[1,0]
	v_pk_add_f32 v[92:93], v[56:57], v[54:55] op_sel:[0,1] op_sel_hi:[1,0] neg_lo:[0,1] neg_hi:[0,1]
	v_pk_add_f32 v[54:55], v[82:83], v[84:85]
	v_mov_b32_e32 v94, v90
	v_pk_fma_f32 v[96:97], v[54:55], 0.5, v[42:43] op_sel_hi:[1,0,1] neg_lo:[1,0,0] neg_hi:[1,0,0]
	global_load_dwordx4 v[54:57], v80, s[4:5] offset:2816
	global_load_dwordx4 v[58:61], v80, s[4:5] offset:2800
	v_mov_b32_e32 v95, v93
	v_pk_mul_f32 v[80:81], v[98:99], s[0:1] op_sel_hi:[1,0]
	v_pk_add_f32 v[42:43], v[42:43], v[82:83]
	v_pk_add_f32 v[62:63], v[88:89], v[62:63]
	v_pk_add_f32 v[98:99], v[96:97], v[80:81] op_sel:[0,1] op_sel_hi:[1,0] neg_lo:[0,1] neg_hi:[0,1]
	v_mul_f32_e32 v26, 0xbf5db3d7, v91
	v_pk_add_f32 v[80:81], v[96:97], v[80:81] op_sel:[0,1] op_sel_hi:[1,0]
	v_pk_mul_f32 v[100:101], v[94:95], 0.5 op_sel_hi:[1,0]
	v_mul_f32_e32 v30, 0x3f5db3d7, v92
	v_pk_add_f32 v[42:43], v[42:43], v[84:85]
	v_pk_add_f32 v[62:63], v[62:63], v[86:87]
	v_fmac_f32_e32 v26, 0.5, v92
	v_mov_b32_e32 v96, v98
	v_mov_b32_e32 v97, v81
	v_pk_fma_f32 v[94:95], v[94:95], s[0:1], v[100:101] op_sel:[0,0,1] op_sel_hi:[1,1,0] neg_lo:[0,0,1] neg_hi:[0,0,1]
	v_fmac_f32_e32 v30, 0.5, v91
	v_pk_add_f32 v[82:83], v[42:43], v[62:63] op_sel:[0,1] op_sel_hi:[1,0] neg_lo:[0,1] neg_hi:[0,1]
	v_pk_add_f32 v[42:43], v[42:43], v[62:63] op_sel:[0,1] op_sel_hi:[1,0]
	v_sub_f32_e32 v92, v80, v30
	v_add_f32_e32 v81, v99, v26
	v_add_f32_e32 v80, v80, v30
	global_store_dwordx2 v[28:29], v[42:43], off
	global_store_dwordx2 v[64:65], v[80:81], off
	v_pk_add_f32 v[28:29], v[96:97], v[94:95]
	v_sub_f32_e32 v93, v99, v26
	v_pk_add_f32 v[100:101], v[96:97], v[94:95] neg_lo:[0,1] neg_hi:[0,1]
	global_store_dwordx2 v[66:67], v[28:29], off
	global_store_dwordx2 v[68:69], v[82:83], off
	;; [unrolled: 1-line block ×4, first 2 shown]
	v_mad_u64_u32 v[28:29], s[6:7], s8, v76, 0
	v_mov_b32_e32 v26, v29
	v_mad_u64_u32 v[42:43], s[6:7], s9, v76, v[26:27]
	v_mov_b32_e32 v29, v42
	v_add_u32_e32 v30, 0x21c, v122
	v_lshl_add_u64 v[42:43], v[28:29], 3, v[0:1]
	v_mad_u64_u32 v[28:29], s[6:7], s8, v30, 0
	v_mov_b32_e32 v26, v29
	v_mad_u64_u32 v[62:63], s[6:7], s9, v30, v[26:27]
	v_mov_b32_e32 v29, v62
	v_add_u32_e32 v30, 0x384, v122
	v_lshl_add_u64 v[62:63], v[28:29], 3, v[0:1]
	;; [unrolled: 6-line block ×5, first 2 shown]
	v_mad_u64_u32 v[28:29], s[6:7], s8, v30, 0
	v_mov_b32_e32 v26, v29
	v_mad_u64_u32 v[70:71], s[6:7], s9, v30, v[26:27]
	v_mov_b32_e32 v29, v70
	v_mov_b32_e32 v30, v53
	v_lshl_add_u64 v[70:71], v[28:29], 3, v[0:1]
	v_mov_b32_e32 v26, v39
	v_mov_b32_e32 v28, v39
	;; [unrolled: 1-line block ×3, first 2 shown]
	s_waitcnt vmcnt(6)
	v_pk_mul_f32 v[38:39], v[60:61], v[30:31] op_sel_hi:[1,0]
	s_nop 0
	v_pk_fma_f32 v[28:29], v[28:29], v[60:61], v[38:39] op_sel:[0,0,1] op_sel_hi:[0,1,0]
	v_mov_b32_e32 v30, v51
	v_pk_fma_f32 v[52:53], v[26:27], v[60:61], v[38:39] op_sel:[0,0,1] op_sel_hi:[1,1,0] neg_lo:[0,0,1] neg_hi:[0,0,1]
	v_mov_b32_e32 v26, v37
	v_mov_b32_e32 v28, v37
	v_pk_mul_f32 v[36:37], v[56:57], v[30:31] op_sel_hi:[1,0]
	v_mov_b32_e32 v53, v29
	v_pk_fma_f32 v[38:39], v[26:27], v[56:57], v[36:37] op_sel:[0,0,1] op_sel_hi:[1,1,0] neg_lo:[0,0,1] neg_hi:[0,0,1]
	v_pk_fma_f32 v[28:29], v[28:29], v[56:57], v[36:37] op_sel:[0,0,1] op_sel_hi:[0,1,0]
	v_mov_b32_e32 v26, v35
	v_mov_b32_e32 v39, v29
	v_pk_mul_f32 v[28:29], v[26:27], v[54:55] op_sel_hi:[0,1]
	v_mov_b32_e32 v26, v49
	v_mov_b32_e32 v30, v49
	v_pk_fma_f32 v[34:35], v[54:55], v[26:27], v[28:29] op_sel:[0,0,1] op_sel_hi:[1,1,0]
	v_pk_fma_f32 v[28:29], v[54:55], v[30:31], v[28:29] op_sel:[0,0,1] op_sel_hi:[1,0,0] neg_lo:[1,0,0] neg_hi:[1,0,0]
	v_mov_b32_e32 v26, v33
	v_mov_b32_e32 v35, v29
	v_pk_mul_f32 v[28:29], v[26:27], v[74:75] op_sel_hi:[0,1]
	v_mov_b32_e32 v26, v47
	v_mov_b32_e32 v30, v47
	v_pk_fma_f32 v[36:37], v[74:75], v[26:27], v[28:29] op_sel:[0,0,1] op_sel_hi:[1,1,0]
	v_mov_b32_e32 v26, v31
	v_pk_fma_f32 v[28:29], v[74:75], v[30:31], v[28:29] op_sel:[0,0,1] op_sel_hi:[1,0,0] neg_lo:[1,0,0] neg_hi:[1,0,0]
	v_pk_mul_f32 v[30:31], v[26:27], v[58:59] op_sel_hi:[0,1]
	v_mov_b32_e32 v26, v45
	v_mov_b32_e32 v37, v29
	v_pk_fma_f32 v[44:45], v[58:59], v[26:27], v[30:31] op_sel:[0,0,1] op_sel_hi:[1,1,0]
	v_pk_fma_f32 v[30:31], v[58:59], v[32:33], v[30:31] op_sel:[0,0,1] op_sel_hi:[1,0,0] neg_lo:[1,0,0] neg_hi:[1,0,0]
	v_pk_add_f32 v[28:29], v[34:35], v[36:37] neg_lo:[0,1] neg_hi:[0,1]
	v_mov_b32_e32 v45, v31
	v_pk_add_f32 v[30:31], v[34:35], v[36:37]
	v_pk_mul_f32 v[28:29], v[28:29], s[0:1] op_sel_hi:[1,0]
	v_pk_fma_f32 v[30:31], v[30:31], 0.5, v[44:45] op_sel_hi:[1,0,1] neg_lo:[1,0,0] neg_hi:[1,0,0]
	v_pk_add_f32 v[34:35], v[44:45], v[34:35]
	v_pk_add_f32 v[46:47], v[30:31], v[28:29] op_sel:[0,1] op_sel_hi:[1,0]
	v_pk_add_f32 v[48:49], v[30:31], v[28:29] op_sel:[0,1] op_sel_hi:[1,0] neg_lo:[0,1] neg_hi:[0,1]
	v_pk_add_f32 v[28:29], v[52:53], v[38:39]
	v_mov_b32_e32 v50, v46
	v_pk_fma_f32 v[26:27], v[28:29], 0.5, v[40:41] op_sel_hi:[1,0,1] neg_lo:[1,0,0] neg_hi:[1,0,0]
	v_pk_add_f32 v[28:29], v[52:53], v[38:39] neg_lo:[0,1] neg_hi:[0,1]
	v_mov_b32_e32 v51, v49
	v_pk_mul_f32 v[28:29], v[28:29], s[0:1] op_sel_hi:[1,0]
	v_pk_add_f32 v[40:41], v[40:41], v[52:53]
	v_pk_add_f32 v[54:55], v[26:27], v[28:29] op_sel:[0,1] op_sel_hi:[1,0] neg_lo:[0,1] neg_hi:[0,1]
	v_pk_add_f32 v[56:57], v[26:27], v[28:29] op_sel:[0,1] op_sel_hi:[1,0]
	global_load_dwordx4 v[26:29], v79, s[4:5] offset:2800
	global_load_dwordx2 v[60:61], v79, s[4:5] offset:2832
	global_load_dwordx4 v[30:33], v79, s[4:5] offset:2816
	v_mul_f32_e32 v46, 0xbf5db3d7, v47
	v_mov_b32_e32 v58, v54
	v_pk_mul_f32 v[72:73], v[50:51], 0.5 op_sel_hi:[1,0]
	v_mul_f32_e32 v54, 0x3f5db3d7, v48
	v_pk_add_f32 v[38:39], v[40:41], v[38:39]
	v_pk_add_f32 v[34:35], v[34:35], v[36:37]
	v_fmac_f32_e32 v46, 0.5, v48
	v_mov_b32_e32 v59, v57
	v_pk_fma_f32 v[50:51], v[50:51], s[0:1], v[72:73] op_sel:[0,0,1] op_sel_hi:[1,1,0] neg_lo:[0,0,1] neg_hi:[0,0,1]
	v_fmac_f32_e32 v54, 0.5, v47
	v_pk_add_f32 v[36:37], v[38:39], v[34:35] op_sel:[0,1] op_sel_hi:[1,0] neg_lo:[0,1] neg_hi:[0,1]
	v_pk_add_f32 v[34:35], v[38:39], v[34:35] op_sel:[0,1] op_sel_hi:[1,0]
	v_sub_f32_e32 v49, v55, v46
	v_add_f32_e32 v47, v55, v46
	v_add_f32_e32 v46, v56, v54
	global_store_dwordx2 v[42:43], v[34:35], off
	global_store_dwordx2 v[62:63], v[46:47], off
	v_pk_add_f32 v[34:35], v[58:59], v[50:51]
	v_pk_add_f32 v[72:73], v[58:59], v[50:51] neg_lo:[0,1] neg_hi:[0,1]
	v_sub_f32_e32 v48, v56, v54
	global_store_dwordx2 v[64:65], v[34:35], off
	global_store_dwordx2 v[66:67], v[36:37], off
	;; [unrolled: 1-line block ×4, first 2 shown]
	v_add_u32_e32 v34, 0xf0, v122
	v_lshrrev_b32_e32 v35, 3, v34
	v_mul_hi_u32 v35, v35, s3
	v_lshrrev_b32_e32 v35, 2, v35
	v_mad_u32_u24 v46, v35, s2, v34
	v_mad_u64_u32 v[34:35], s[6:7], s8, v46, 0
	v_mov_b32_e32 v36, v35
	v_mad_u64_u32 v[36:37], s[6:7], s9, v46, v[36:37]
	v_add_u32_e32 v39, 0x168, v46
	v_mov_b32_e32 v35, v36
	v_mad_u64_u32 v[36:37], s[6:7], s8, v39, 0
	v_mov_b32_e32 v38, v37
	v_mad_u64_u32 v[38:39], s[6:7], s9, v39, v[38:39]
	v_add_u32_e32 v41, 0x2d0, v46
	v_mov_b32_e32 v37, v38
	;; [unrolled: 5-line block ×5, first 2 shown]
	v_mad_u64_u32 v[44:45], s[6:7], s8, v47, 0
	v_mov_b32_e32 v46, v45
	v_mad_u64_u32 v[46:47], s[6:7], s9, v47, v[46:47]
	v_mov_b32_e32 v45, v46
	global_load_dwordx2 v[46:47], v77, s[4:5] offset:2832
	v_lshl_add_u64 v[34:35], v[34:35], 3, v[0:1]
	v_lshl_add_u64 v[36:37], v[36:37], 3, v[0:1]
	;; [unrolled: 1-line block ×6, first 2 shown]
	s_waitcnt vmcnt(9)
	v_pk_mul_f32 v[48:49], v[28:29], v[20:21] op_sel_hi:[1,0]
	s_nop 0
	v_pk_fma_f32 v[50:51], v[12:13], v[28:29], v[48:49] op_sel:[0,0,1] op_sel_hi:[1,1,0] neg_lo:[0,0,1] neg_hi:[0,0,1]
	v_pk_fma_f32 v[28:29], v[12:13], v[28:29], v[48:49] op_sel:[0,0,1] op_sel_hi:[0,1,0]
	v_mov_b32_e32 v51, v29
	s_waitcnt vmcnt(7)
	v_pk_mul_f32 v[28:29], v[32:33], v[16:17] op_sel_hi:[1,0]
	s_nop 0
	v_pk_fma_f32 v[48:49], v[10:11], v[32:33], v[28:29] op_sel:[0,0,1] op_sel_hi:[1,1,0] neg_lo:[0,0,1] neg_hi:[0,0,1]
	v_pk_fma_f32 v[28:29], v[10:11], v[32:33], v[28:29] op_sel:[0,0,1] op_sel_hi:[0,1,0]
	v_mov_b32_e32 v49, v29
	v_pk_mul_f32 v[28:29], v[8:9], v[30:31] op_sel_hi:[0,1]
	v_pk_fma_f32 v[52:53], v[30:31], v[18:19], v[28:29] op_sel:[0,0,1] op_sel_hi:[1,1,0]
	v_pk_fma_f32 v[28:29], v[30:31], v[18:19], v[28:29] op_sel:[0,0,1] op_sel_hi:[1,0,0] neg_lo:[1,0,0] neg_hi:[1,0,0]
	v_pk_mul_f32 v[30:31], v[4:5], v[26:27] op_sel_hi:[0,1]
	v_mov_b32_e32 v53, v29
	v_pk_mul_f32 v[28:29], v[6:7], v[60:61] op_sel_hi:[0,1]
	v_pk_fma_f32 v[54:55], v[60:61], v[24:25], v[28:29] op_sel:[0,0,1] op_sel_hi:[1,1,0]
	v_pk_fma_f32 v[28:29], v[60:61], v[24:25], v[28:29] op_sel:[0,0,1] op_sel_hi:[1,0,0] neg_lo:[1,0,0] neg_hi:[1,0,0]
	v_pk_fma_f32 v[56:57], v[26:27], v[14:15], v[30:31] op_sel:[0,0,1] op_sel_hi:[1,1,0]
	v_mov_b32_e32 v55, v29
	v_pk_fma_f32 v[26:27], v[26:27], v[14:15], v[30:31] op_sel:[0,0,1] op_sel_hi:[1,0,0] neg_lo:[1,0,0] neg_hi:[1,0,0]
	v_pk_add_f32 v[28:29], v[52:53], v[54:55] neg_lo:[0,1] neg_hi:[0,1]
	v_mov_b32_e32 v57, v27
	v_pk_add_f32 v[26:27], v[52:53], v[54:55]
	v_pk_mul_f32 v[28:29], v[28:29], s[0:1] op_sel_hi:[1,0]
	v_pk_fma_f32 v[26:27], v[26:27], 0.5, v[56:57] op_sel_hi:[1,0,1] neg_lo:[1,0,0] neg_hi:[1,0,0]
	v_mov_b32_e32 v14, v15
	v_pk_add_f32 v[58:59], v[26:27], v[28:29] op_sel:[0,1] op_sel_hi:[1,0]
	v_pk_add_f32 v[60:61], v[26:27], v[28:29] op_sel:[0,1] op_sel_hi:[1,0] neg_lo:[0,1] neg_hi:[0,1]
	v_pk_add_f32 v[26:27], v[50:51], v[48:49]
	v_mul_f32_e32 v4, 0xbf5db3d7, v59
	v_pk_fma_f32 v[64:65], v[26:27], 0.5, v[22:23] op_sel_hi:[1,0,1] neg_lo:[1,0,0] neg_hi:[1,0,0]
	v_pk_add_f32 v[26:27], v[50:51], v[48:49] neg_lo:[0,1] neg_hi:[0,1]
	v_fmac_f32_e32 v4, 0.5, v60
	v_pk_mul_f32 v[66:67], v[26:27], s[0:1] op_sel_hi:[1,0]
	global_load_dwordx4 v[26:29], v77, s[4:5] offset:2816
	global_load_dwordx4 v[30:33], v77, s[4:5] offset:2800
	v_pk_add_f32 v[68:69], v[64:65], v[66:67] op_sel:[0,1] op_sel_hi:[1,0] neg_lo:[0,1] neg_hi:[0,1]
	v_mul_f32_e32 v6, 0x3f5db3d7, v60
	v_mov_b32_e32 v63, v61
	v_sub_f32_e32 v61, v69, v4
	v_pk_add_f32 v[64:65], v[64:65], v[66:67] op_sel:[0,1] op_sel_hi:[1,0]
	v_fmac_f32_e32 v6, 0.5, v59
	v_add_f32_e32 v59, v69, v4
	v_pk_add_f32 v[22:23], v[22:23], v[50:51]
	v_add_u32_e32 v4, 0x12c, v122
	v_mov_b32_e32 v62, v58
	v_sub_f32_e32 v60, v64, v6
	v_add_f32_e32 v58, v64, v6
	v_pk_add_f32 v[22:23], v[22:23], v[48:49]
	v_pk_add_f32 v[48:49], v[56:57], v[52:53]
	v_lshrrev_b32_e32 v6, 3, v4
	v_pk_mul_f32 v[70:71], v[62:63], 0.5 op_sel_hi:[1,0]
	v_pk_add_f32 v[48:49], v[48:49], v[54:55]
	v_mul_hi_u32 v6, v6, s3
	v_mov_b32_e32 v66, v68
	v_mov_b32_e32 v67, v65
	v_pk_fma_f32 v[62:63], v[62:63], s[0:1], v[70:71] op_sel:[0,0,1] op_sel_hi:[1,1,0] neg_lo:[0,0,1] neg_hi:[0,0,1]
	v_pk_add_f32 v[50:51], v[22:23], v[48:49] op_sel:[0,1] op_sel_hi:[1,0] neg_lo:[0,1] neg_hi:[0,1]
	v_pk_add_f32 v[22:23], v[22:23], v[48:49] op_sel:[0,1] op_sel_hi:[1,0]
	v_lshrrev_b32_e32 v6, 2, v6
	global_store_dwordx2 v[34:35], v[22:23], off
	global_store_dwordx2 v[36:37], v[58:59], off
	v_pk_add_f32 v[22:23], v[66:67], v[62:63]
	v_mad_u32_u24 v6, v6, s2, v4
	v_pk_add_f32 v[70:71], v[66:67], v[62:63] neg_lo:[0,1] neg_hi:[0,1]
	global_store_dwordx2 v[38:39], v[22:23], off
	global_store_dwordx2 v[40:41], v[50:51], off
	;; [unrolled: 1-line block ×4, first 2 shown]
	v_mad_u64_u32 v[22:23], s[2:3], s8, v6, 0
	v_mov_b32_e32 v4, v23
	v_mad_u64_u32 v[34:35], s[2:3], s9, v6, v[4:5]
	v_add_u32_e32 v8, 0x168, v6
	v_mov_b32_e32 v23, v34
	v_mad_u64_u32 v[34:35], s[2:3], s8, v8, 0
	v_mov_b32_e32 v4, v35
	v_mad_u64_u32 v[36:37], s[2:3], s9, v8, v[4:5]
	v_add_u32_e32 v8, 0x2d0, v6
	v_mov_b32_e32 v35, v36
	;; [unrolled: 5-line block ×5, first 2 shown]
	v_mad_u64_u32 v[42:43], s[2:3], s8, v6, 0
	v_mov_b32_e32 v4, v43
	v_mov_b32_e32 v8, v21
	v_mad_u64_u32 v[44:45], s[2:3], s9, v6, v[4:5]
	v_mov_b32_e32 v4, v13
	v_mov_b32_e32 v6, v13
	v_lshl_add_u64 v[22:23], v[22:23], 3, v[0:1]
	v_lshl_add_u64 v[34:35], v[34:35], 3, v[0:1]
	;; [unrolled: 1-line block ×3, first 2 shown]
	v_mov_b32_e32 v43, v44
	v_lshl_add_u64 v[38:39], v[38:39], 3, v[0:1]
	v_lshl_add_u64 v[40:41], v[40:41], 3, v[0:1]
	;; [unrolled: 1-line block ×3, first 2 shown]
	s_waitcnt vmcnt(6)
	v_pk_mul_f32 v[12:13], v[32:33], v[8:9] op_sel_hi:[1,0]
	v_mov_b32_e32 v8, v17
	v_pk_fma_f32 v[20:21], v[4:5], v[32:33], v[12:13] op_sel:[0,0,1] op_sel_hi:[1,1,0] neg_lo:[0,0,1] neg_hi:[0,0,1]
	v_pk_fma_f32 v[12:13], v[6:7], v[32:33], v[12:13] op_sel:[0,0,1] op_sel_hi:[0,1,0]
	v_mov_b32_e32 v4, v11
	v_mov_b32_e32 v6, v11
	v_pk_mul_f32 v[10:11], v[28:29], v[8:9] op_sel_hi:[1,0]
	v_mov_b32_e32 v21, v13
	v_pk_fma_f32 v[12:13], v[4:5], v[28:29], v[10:11] op_sel:[0,0,1] op_sel_hi:[1,1,0] neg_lo:[0,0,1] neg_hi:[0,0,1]
	v_mov_b32_e32 v4, v9
	v_pk_fma_f32 v[10:11], v[6:7], v[28:29], v[10:11] op_sel:[0,0,1] op_sel_hi:[0,1,0]
	v_pk_mul_f32 v[8:9], v[4:5], v[26:27] op_sel_hi:[0,1]
	v_mov_b32_e32 v4, v19
	v_mov_b32_e32 v13, v11
	;; [unrolled: 1-line block ×3, first 2 shown]
	v_pk_fma_f32 v[10:11], v[26:27], v[4:5], v[8:9] op_sel:[0,0,1] op_sel_hi:[1,1,0]
	v_mov_b32_e32 v4, v7
	v_pk_fma_f32 v[8:9], v[26:27], v[6:7], v[8:9] op_sel:[0,0,1] op_sel_hi:[1,0,0] neg_lo:[1,0,0] neg_hi:[1,0,0]
	v_pk_mul_f32 v[6:7], v[4:5], v[46:47] op_sel_hi:[0,1]
	v_mov_b32_e32 v4, v25
	v_mov_b32_e32 v8, v25
	v_pk_fma_f32 v[16:17], v[46:47], v[4:5], v[6:7] op_sel:[0,0,1] op_sel_hi:[1,1,0]
	v_mov_b32_e32 v4, v5
	v_pk_fma_f32 v[6:7], v[46:47], v[8:9], v[6:7] op_sel:[0,0,1] op_sel_hi:[1,0,0] neg_lo:[1,0,0] neg_hi:[1,0,0]
	v_pk_mul_f32 v[4:5], v[4:5], v[30:31] op_sel_hi:[0,1]
	v_mov_b32_e32 v8, v15
	v_mov_b32_e32 v11, v9
	;; [unrolled: 1-line block ×3, first 2 shown]
	v_pk_fma_f32 v[8:9], v[30:31], v[8:9], v[4:5] op_sel:[0,0,1] op_sel_hi:[1,1,0]
	v_pk_fma_f32 v[4:5], v[30:31], v[14:15], v[4:5] op_sel:[0,0,1] op_sel_hi:[1,0,0] neg_lo:[1,0,0] neg_hi:[1,0,0]
	v_pk_add_f32 v[6:7], v[10:11], v[16:17] neg_lo:[0,1] neg_hi:[0,1]
	v_mov_b32_e32 v9, v5
	v_pk_add_f32 v[4:5], v[10:11], v[16:17]
	v_pk_mul_f32 v[6:7], v[6:7], s[0:1] op_sel_hi:[1,0]
	v_pk_fma_f32 v[4:5], v[4:5], 0.5, v[8:9] op_sel_hi:[1,0,1] neg_lo:[1,0,0] neg_hi:[1,0,0]
	v_pk_add_f32 v[18:19], v[20:21], v[12:13]
	v_pk_add_f32 v[24:25], v[20:21], v[12:13] neg_lo:[0,1] neg_hi:[0,1]
	v_pk_add_f32 v[14:15], v[4:5], v[6:7] op_sel:[0,1] op_sel_hi:[1,0]
	v_pk_add_f32 v[4:5], v[4:5], v[6:7] op_sel:[0,1] op_sel_hi:[1,0] neg_lo:[0,1] neg_hi:[0,1]
	v_pk_fma_f32 v[18:19], v[18:19], 0.5, v[2:3] op_sel_hi:[1,0,1] neg_lo:[1,0,0] neg_hi:[1,0,0]
	v_pk_mul_f32 v[24:25], v[24:25], s[0:1] op_sel_hi:[1,0]
	v_mov_b32_e32 v6, v14
	v_mov_b32_e32 v7, v5
	v_pk_add_f32 v[26:27], v[18:19], v[24:25] op_sel:[0,1] op_sel_hi:[1,0] neg_lo:[0,1] neg_hi:[0,1]
	v_pk_add_f32 v[18:19], v[18:19], v[24:25] op_sel:[0,1] op_sel_hi:[1,0]
	v_pk_add_f32 v[2:3], v[2:3], v[20:21]
	v_pk_add_f32 v[8:9], v[8:9], v[10:11]
	v_mul_f32_e32 v14, 0xbf5db3d7, v15
	v_mov_b32_e32 v25, v19
	v_pk_mul_f32 v[28:29], v[6:7], 0.5 op_sel_hi:[1,0]
	v_mul_f32_e32 v19, 0x3f5db3d7, v4
	v_pk_add_f32 v[2:3], v[2:3], v[12:13]
	v_pk_add_f32 v[8:9], v[8:9], v[16:17]
	v_fmac_f32_e32 v14, 0.5, v4
	v_mov_b32_e32 v24, v26
	v_pk_fma_f32 v[6:7], v[6:7], s[0:1], v[28:29] op_sel:[0,0,1] op_sel_hi:[1,1,0] neg_lo:[0,0,1] neg_hi:[0,0,1]
	v_fmac_f32_e32 v19, 0.5, v15
	v_pk_add_f32 v[10:11], v[2:3], v[8:9] op_sel:[0,1] op_sel_hi:[1,0] neg_lo:[0,1] neg_hi:[0,1]
	v_pk_add_f32 v[2:3], v[2:3], v[8:9] op_sel:[0,1] op_sel_hi:[1,0]
	v_sub_f32_e32 v5, v27, v14
	v_add_f32_e32 v15, v27, v14
	v_add_f32_e32 v14, v18, v19
	global_store_dwordx2 v[22:23], v[2:3], off
	global_store_dwordx2 v[34:35], v[14:15], off
	v_pk_add_f32 v[2:3], v[24:25], v[6:7]
	v_pk_add_f32 v[28:29], v[24:25], v[6:7] neg_lo:[0,1] neg_hi:[0,1]
	v_sub_f32_e32 v4, v18, v19
	global_store_dwordx2 v[36:37], v[2:3], off
	global_store_dwordx2 v[38:39], v[10:11], off
	;; [unrolled: 1-line block ×4, first 2 shown]
.LBB0_21:
	s_endpgm
	.section	.rodata,"a",@progbits
	.p2align	6, 0x0
	.amdhsa_kernel fft_rtc_fwd_len2160_factors_10_6_6_6_wgs_60_tpt_60_halfLds_sp_ip_CI_sbrr_dirReg
		.amdhsa_group_segment_fixed_size 0
		.amdhsa_private_segment_fixed_size 0
		.amdhsa_kernarg_size 88
		.amdhsa_user_sgpr_count 2
		.amdhsa_user_sgpr_dispatch_ptr 0
		.amdhsa_user_sgpr_queue_ptr 0
		.amdhsa_user_sgpr_kernarg_segment_ptr 1
		.amdhsa_user_sgpr_dispatch_id 0
		.amdhsa_user_sgpr_kernarg_preload_length 0
		.amdhsa_user_sgpr_kernarg_preload_offset 0
		.amdhsa_user_sgpr_private_segment_size 0
		.amdhsa_uses_dynamic_stack 0
		.amdhsa_enable_private_segment 0
		.amdhsa_system_sgpr_workgroup_id_x 1
		.amdhsa_system_sgpr_workgroup_id_y 0
		.amdhsa_system_sgpr_workgroup_id_z 0
		.amdhsa_system_sgpr_workgroup_info 0
		.amdhsa_system_vgpr_workitem_id 0
		.amdhsa_next_free_vgpr 161
		.amdhsa_next_free_sgpr 24
		.amdhsa_accum_offset 164
		.amdhsa_reserve_vcc 1
		.amdhsa_float_round_mode_32 0
		.amdhsa_float_round_mode_16_64 0
		.amdhsa_float_denorm_mode_32 3
		.amdhsa_float_denorm_mode_16_64 3
		.amdhsa_dx10_clamp 1
		.amdhsa_ieee_mode 1
		.amdhsa_fp16_overflow 0
		.amdhsa_tg_split 0
		.amdhsa_exception_fp_ieee_invalid_op 0
		.amdhsa_exception_fp_denorm_src 0
		.amdhsa_exception_fp_ieee_div_zero 0
		.amdhsa_exception_fp_ieee_overflow 0
		.amdhsa_exception_fp_ieee_underflow 0
		.amdhsa_exception_fp_ieee_inexact 0
		.amdhsa_exception_int_div_zero 0
	.end_amdhsa_kernel
	.text
.Lfunc_end0:
	.size	fft_rtc_fwd_len2160_factors_10_6_6_6_wgs_60_tpt_60_halfLds_sp_ip_CI_sbrr_dirReg, .Lfunc_end0-fft_rtc_fwd_len2160_factors_10_6_6_6_wgs_60_tpt_60_halfLds_sp_ip_CI_sbrr_dirReg
                                        ; -- End function
	.section	.AMDGPU.csdata,"",@progbits
; Kernel info:
; codeLenInByte = 19832
; NumSgprs: 30
; NumVgprs: 161
; NumAgprs: 0
; TotalNumVgprs: 161
; ScratchSize: 0
; MemoryBound: 0
; FloatMode: 240
; IeeeMode: 1
; LDSByteSize: 0 bytes/workgroup (compile time only)
; SGPRBlocks: 3
; VGPRBlocks: 20
; NumSGPRsForWavesPerEU: 30
; NumVGPRsForWavesPerEU: 161
; AccumOffset: 164
; Occupancy: 3
; WaveLimiterHint : 1
; COMPUTE_PGM_RSRC2:SCRATCH_EN: 0
; COMPUTE_PGM_RSRC2:USER_SGPR: 2
; COMPUTE_PGM_RSRC2:TRAP_HANDLER: 0
; COMPUTE_PGM_RSRC2:TGID_X_EN: 1
; COMPUTE_PGM_RSRC2:TGID_Y_EN: 0
; COMPUTE_PGM_RSRC2:TGID_Z_EN: 0
; COMPUTE_PGM_RSRC2:TIDIG_COMP_CNT: 0
; COMPUTE_PGM_RSRC3_GFX90A:ACCUM_OFFSET: 40
; COMPUTE_PGM_RSRC3_GFX90A:TG_SPLIT: 0
	.text
	.p2alignl 6, 3212836864
	.fill 256, 4, 3212836864
	.type	__hip_cuid_99d6c45748dce47e,@object ; @__hip_cuid_99d6c45748dce47e
	.section	.bss,"aw",@nobits
	.globl	__hip_cuid_99d6c45748dce47e
__hip_cuid_99d6c45748dce47e:
	.byte	0                               ; 0x0
	.size	__hip_cuid_99d6c45748dce47e, 1

	.ident	"AMD clang version 19.0.0git (https://github.com/RadeonOpenCompute/llvm-project roc-6.4.0 25133 c7fe45cf4b819c5991fe208aaa96edf142730f1d)"
	.section	".note.GNU-stack","",@progbits
	.addrsig
	.addrsig_sym __hip_cuid_99d6c45748dce47e
	.amdgpu_metadata
---
amdhsa.kernels:
  - .agpr_count:     0
    .args:
      - .actual_access:  read_only
        .address_space:  global
        .offset:         0
        .size:           8
        .value_kind:     global_buffer
      - .offset:         8
        .size:           8
        .value_kind:     by_value
      - .actual_access:  read_only
        .address_space:  global
        .offset:         16
        .size:           8
        .value_kind:     global_buffer
      - .actual_access:  read_only
        .address_space:  global
        .offset:         24
        .size:           8
        .value_kind:     global_buffer
      - .offset:         32
        .size:           8
        .value_kind:     by_value
      - .actual_access:  read_only
        .address_space:  global
        .offset:         40
        .size:           8
        .value_kind:     global_buffer
      - .actual_access:  read_only
        .address_space:  global
        .offset:         48
        .size:           8
        .value_kind:     global_buffer
      - .offset:         56
        .size:           4
        .value_kind:     by_value
      - .actual_access:  read_only
        .address_space:  global
        .offset:         64
        .size:           8
        .value_kind:     global_buffer
      - .actual_access:  read_only
        .address_space:  global
        .offset:         72
        .size:           8
        .value_kind:     global_buffer
      - .address_space:  global
        .offset:         80
        .size:           8
        .value_kind:     global_buffer
    .group_segment_fixed_size: 0
    .kernarg_segment_align: 8
    .kernarg_segment_size: 88
    .language:       OpenCL C
    .language_version:
      - 2
      - 0
    .max_flat_workgroup_size: 60
    .name:           fft_rtc_fwd_len2160_factors_10_6_6_6_wgs_60_tpt_60_halfLds_sp_ip_CI_sbrr_dirReg
    .private_segment_fixed_size: 0
    .sgpr_count:     30
    .sgpr_spill_count: 0
    .symbol:         fft_rtc_fwd_len2160_factors_10_6_6_6_wgs_60_tpt_60_halfLds_sp_ip_CI_sbrr_dirReg.kd
    .uniform_work_group_size: 1
    .uses_dynamic_stack: false
    .vgpr_count:     161
    .vgpr_spill_count: 0
    .wavefront_size: 64
amdhsa.target:   amdgcn-amd-amdhsa--gfx950
amdhsa.version:
  - 1
  - 2
...

	.end_amdgpu_metadata
